;; amdgpu-corpus repo=ROCm/aiter kind=harvested arch=n/a opt=n/a

/root/src/amdgpu-assembly/repos/ROCm__aiter/hsa/gfx942/fmha_v3_fwd/MI300/fwd_hd192x128_bf16_causal_rtna.co:	file format elf64-amdgpu

Disassembly of section .text:

0000000000003300 <_ZN5aiter35fmha_fwd_hd192x128_bf16_causal_rtnaE>:
	s_and_b32 s1, s1, 0xffff                                   // 000000003300: 8601FF01 0000FFFF
	s_load_dwordx2 s[20:21], s[0:1], 0x0                       // 000000003308: C0060500 00000000
	s_load_dwordx2 s[8:9], s[0:1], 0x10                        // 000000003310: C0060200 00000010
	s_load_dwordx2 s[12:13], s[0:1], 0x20                      // 000000003318: C0060300 00000020
	s_load_dwordx2 s[16:17], s[0:1], 0x30                      // 000000003320: C0060400 00000030
	s_load_dwordx2 s[24:25], s[0:1], 0x40                      // 000000003328: C0060600 00000040
	s_load_dword s28, s[0:1], 0x50                             // 000000003330: C0020700 00000050
	s_load_dword s30, s[0:1], 0x60                             // 000000003338: C0020780 00000060
	s_load_dword s62, s[0:1], 0x70                             // 000000003340: C0020F80 00000070
	s_load_dword s31, s[0:1], 0x80                             // 000000003348: C00207C0 00000080
	s_load_dword s32, s[0:1], 0x90                             // 000000003350: C0020800 00000090
	s_load_dword s33, s[0:1], 0xa0                             // 000000003358: C0020840 000000A0
	s_load_dword s46, s[0:1], 0xb0                             // 000000003360: C0020B80 000000B0
	s_load_dword s61, s[0:1], 0xc0                             // 000000003368: C0020F40 000000C0
	s_load_dword s47, s[0:1], 0xd0                             // 000000003370: C0020BC0 000000D0
	s_load_dword s48, s[0:1], 0xe0                             // 000000003378: C0020C00 000000E0
	s_load_dword s34, s[0:1], 0xf0                             // 000000003380: C0020880 000000F0
	s_load_dword s37, s[0:1], 0x100                            // 000000003388: C0020940 00000100
	s_load_dword s7, s[0:1], 0x110                             // 000000003390: C00201C0 00000110
	s_load_dword s96, s[0:1], 0x140                            // 000000003398: C0021800 00000140
	s_load_dword s80, s[0:1], 0x150                            // 0000000033A0: C0021400 00000150
	s_load_dword s81, s[0:1], 0x160                            // 0000000033A8: C0021440 00000160
	s_load_dword s82, s[0:1], 0x170                            // 0000000033B0: C0021480 00000170
	s_load_dword s83, s[0:1], 0x180                            // 0000000033B8: C00214C0 00000180
	s_load_dword s84, s[0:1], 0x190                            // 0000000033C0: C0021500 00000190
	s_load_dword s85, s[0:1], 0x1a0                            // 0000000033C8: C0021540 000001A0
	s_load_dwordx2 s[76:77], s[0:1], 0x1b0                     // 0000000033D0: C0061300 000001B0
	s_load_dwordx2 s[78:79], s[0:1], 0x1c0                     // 0000000033D8: C0061380 000001C0
	s_load_dword s86, s[0:1], 0x1d0                            // 0000000033E0: C0021580 000001D0
	s_load_dwordx2 s[88:89], s[0:1], 0x1e0                     // 0000000033E8: C0061600 000001E0
	s_load_dwordx2 s[90:91], s[0:1], 0x1f0                     // 0000000033F0: C0061680 000001F0
	v_lshrrev_b32_e32 v1, 10, v0                               // 0000000033F8: 2002008A
	v_lshrrev_b32_e32 v2, 10, v1                               // 0000000033FC: 2004028A
	v_and_b32_e32 v2, 0x3ff, v2                                // 000000003400: 260404FF 000003FF
	v_and_b32_e32 v1, 0x3ff, v1                                // 000000003408: 260202FF 000003FF
	v_and_b32_e32 v0, 0x3ff, v0                                // 000000003410: 260000FF 000003FF
	v_lshrrev_b32_e32 v3, 6, v0                                // 000000003418: 20060086
	v_and_b32_e32 v0, 63, v0                                   // 00000000341C: 260000BF
	s_mov_b32 s2, s2                                           // 000000003420: BE820002
	s_mov_b32 s3, s3                                           // 000000003424: BE830003
	s_mov_b32 s4, s4                                           // 000000003428: BE840004
	v_readfirstlane_b32 s5, v3                                 // 00000000342C: 7E0A0503
	s_waitcnt lgkmcnt(0)                                       // 000000003430: BF8CC07F
	s_add_u32 s41, s30, 0x7f                                   // 000000003434: 8029FF1E 0000007F
	s_lshr_b32 s40, s41, 7                                     // 00000000343C: 8F288729
	s_sub_u32 s40, s40, 1                                      // 000000003440: 80A88128
	s_sub_u32 s3, s40, s3                                      // 000000003444: 80830328
	s_mov_b32 s34, 0                                           // 000000003448: BEA20080
	s_nop 0                                                    // 00000000344C: BF800000
	s_lshr_b32 s40, s34, 1                                     // 000000003450: 8F288122
	s_and_b32 s40, 3, s40                                      // 000000003454: 86282883
	s_cmp_lt_u32 s40, 1                                        // 000000003458: BF0A8128
	s_cbranch_scc1 label_0074                                  // 00000000345C: BF85001C
	s_add_u32 s41, s30, 0x7f                                   // 000000003460: 8029FF1E 0000007F
	s_lshr_b32 s41, s41, 7                                     // 000000003468: 8F298729
	s_add_u32 s41, s41, 1                                      // 00000000346C: 80298129
	s_lshr_b32 s6, s41, 1                                      // 000000003470: 8F068129
	s_cmp_eq_u32 s40, 2                                        // 000000003474: BF068228
	s_cbranch_scc1 label_0067                                  // 000000003478: BF850008
	s_lshr_b32 s41, s6, 3                                      // 00000000347C: 8F298306
	s_lshr_b32 s42, s3, 3                                      // 000000003480: 8F2A8303
	s_and_b32 s40, s3, 7                                       // 000000003484: 86288703
	s_mul_i32 s40, s40, s41                                    // 000000003488: 92282928
	s_add_u32 s40, s42, s40                                    // 00000000348C: 8028282A
	s_cmp_lt_i32 s42, s41                                      // 000000003490: BF04292A
	s_cselect_b32 s3, s40, s3                                  // 000000003494: 85030328
	s_branch label_0074                                        // 000000003498: BF82000D

000000000000349c <label_0067>:
	s_and_b32 s40, s2, 7                                       // 00000000349C: 86288702
	s_mul_i32 s40, s40, s6                                     // 0000000034A0: 92280628
	s_add_u32 s40, s40, s3                                     // 0000000034A4: 80280328
	s_and_b32 s41, s40, 7                                      // 0000000034A8: 86298728
	s_lshr_b32 s3, s40, 3                                      // 0000000034AC: 8F038328
	s_and_b32 s2, s2, -8                                       // 0000000034B0: 8602C802
	s_add_u32 s2, s2, s41                                      // 0000000034B4: 80022902
	s_nop 0                                                    // 0000000034B8: BF800000
	s_nop 0                                                    // 0000000034BC: BF800000
	s_nop 0                                                    // 0000000034C0: BF800000
	s_nop 0                                                    // 0000000034C4: BF800000
	s_nop 0                                                    // 0000000034C8: BF800000
	s_nop 0                                                    // 0000000034CC: BF800000

00000000000034d0 <label_0074>:
	s_mul_i32 s40, s30, s62                                    // 0000000034D0: 92283E1E
	s_mov_b32 s10, s40                                         // 0000000034D4: BE8A0028
	s_mul_i32 s40, s30, s83                                    // 0000000034D8: 9228531E
	s_mov_b32 s22, s40                                         // 0000000034DC: BE960028
	s_mul_i32 s40, s7, s61                                     // 0000000034E0: 92283D07
	s_mov_b32 s14, s40                                         // 0000000034E4: BE8E0028
	s_mul_i32 s40, s7, s80                                     // 0000000034E8: 92285007
	s_mov_b32 s18, s40                                         // 0000000034EC: BE920028
	s_mul_i32 s40, s30, 4                                      // 0000000034F0: 9228841E
	s_mov_b32 s26, s40                                         // 0000000034F4: BE9A0028
	s_mov_b32 s23, 0x20000                                     // 0000000034F8: BE9700FF 00020000
	s_mov_b32 s11, 0x20000                                     // 000000003500: BE8B00FF 00020000
	s_mov_b32 s15, 0x20000                                     // 000000003508: BE8F00FF 00020000
	s_mov_b32 s19, 0x20000                                     // 000000003510: BE9300FF 00020000
	s_mov_b32 s27, 0x20000                                     // 000000003518: BE9B00FF 00020000
	s_and_b32 s21, s21, 0xffff                                 // 000000003520: 8615FF15 0000FFFF
	s_and_b32 s9, s9, 0xffff                                   // 000000003528: 8609FF09 0000FFFF
	s_and_b32 s13, s13, 0xffff                                 // 000000003530: 860DFF0D 0000FFFF
	s_and_b32 s17, s17, 0xffff                                 // 000000003538: 8611FF11 0000FFFF
	s_and_b32 s25, s25, 0xffff                                 // 000000003540: 8619FF19 0000FFFF
	s_nop 0                                                    // 000000003548: BF800000
	s_nop 0                                                    // 00000000354C: BF800000
	s_mov_b32 s64, s2                                          // 000000003550: BEC00002
	s_mov_b32 s65, s46                                         // 000000003554: BEC1002E
	v_cvt_f32_u32_e32 v40, s65                                 // 000000003558: 7E500C41
	s_sub_i32 s40, 0, s65                                      // 00000000355C: 81A84180
	v_rcp_iflag_f32_e32 v40, v40                               // 000000003560: 7E504728
	s_nop 0                                                    // 000000003564: BF800000
	v_mul_f32_e32 v40, 0x4f7ffffe, v40                         // 000000003568: 0A5050FF 4F7FFFFE
	v_cvt_u32_f32_e32 v40, v40                                 // 000000003570: 7E500F28
	v_mul_lo_u32 v41, s40, v40                                 // 000000003574: D2850029 00025028
	v_mul_hi_u32 v41, v40, v41                                 // 00000000357C: D2860029 00025328
	v_add_u32_e32 v40, v40, v41                                // 000000003584: 68505328
	v_mul_hi_u32 v40, s64, v40                                 // 000000003588: D2860028 00025040
	v_mul_lo_u32 v41, v40, s65                                 // 000000003590: D2850029 00008328
	v_sub_u32_e32 v43, s64, v41                                // 000000003598: 6A565240
	v_add_u32_e32 v42, 1, v40                                  // 00000000359C: 68545081
	v_cmp_le_u32_e32 vcc, s65, v43                             // 0000000035A0: 7D965641
	v_subrev_u32_e32 v41, s65, v43                             // 0000000035A4: 6C525641
	s_nop 0                                                    // 0000000035A8: BF800000
	v_cndmask_b32_e32 v40, v40, v42, vcc                       // 0000000035AC: 00505528
	v_cndmask_b32_e32 v43, v43, v41, vcc                       // 0000000035B0: 0056532B
	v_add_u32_e32 v41, 1, v40                                  // 0000000035B4: 68525081
	v_cmp_le_u32_e32 vcc, s65, v43                             // 0000000035B8: 7D965641
	s_nop 1                                                    // 0000000035BC: BF800001
	v_cndmask_b32_e32 v43, v40, v41, vcc                       // 0000000035C0: 00565328
	s_nop 3                                                    // 0000000035C4: BF800003
	v_readfirstlane_b32 s66, v43                               // 0000000035C8: 7E84052B
	s_nop 3                                                    // 0000000035CC: BF800003
	s_mov_b32 s49, 0x7060302                                   // 0000000035D0: BEB100FF 07060302
	s_mov_b32 s50, 0x5040100                                   // 0000000035D8: BEB200FF 05040100
	v_mov_b32_e32 v65, 0xffff0000                              // 0000000035E0: 7E8202FF FFFF0000
	v_mov_b32_e32 v66, 0x7fff0000                              // 0000000035E8: 7E8402FF 7FFF0000
	v_mov_b32_e32 v67, 0x7fff                                  // 0000000035F0: 7E8602FF 00007FFF
	v_lshrrev_b32_e32 v40, 5, v0                               // 0000000035F8: 20500085
	v_sub_u32_e32 v40, 1, v40                                  // 0000000035FC: 6A505081
	v_mul_i32_i24_e32 v56, 0x80, v40                           // 000000003600: 0C7050FF 00000080
	v_and_b32_e32 v40, 31, v0                                  // 000000003608: 2650009F
	v_mul_i32_i24_e32 v40, 4, v40                              // 00000000360C: 0C505084
	v_add_u32_e32 v56, v40, v56                                // 000000003610: 68707128
	s_mov_b32 s60, 0                                           // 000000003614: BEBC0080
	s_mov_b32 s35, 0                                           // 000000003618: BEA30080
	s_mul_i32 s43, 32, s61                                     // 00000000361C: 922B3DA0
	s_mul_i32 s44, 32, s80                                     // 000000003620: 922C50A0
	s_mul_i32 s40, s4, s33                                     // 000000003624: 92282104
	s_mul_hi_u32 s42, s4, s33                                  // 000000003628: 962A2104
	s_and_b32 s42, s42, 0xffff                                 // 00000000362C: 862AFF2A 0000FFFF
	s_mul_i32 s41, s2, s32                                     // 000000003634: 92292002
	s_add_u32 s40, s40, s41                                    // 000000003638: 80282928
	s_add_u32 s8, s40, s8                                      // 00000000363C: 80080828
	s_addc_u32 s9, s42, s9                                     // 000000003640: 8209092A
	s_mul_i32 s40, s4, s85                                     // 000000003644: 92285504
	s_mul_hi_u32 s42, s4, s85                                  // 000000003648: 962A5504
	s_and_b32 s42, s42, 0xffff                                 // 00000000364C: 862AFF2A 0000FFFF
	s_mul_i32 s41, s2, s84                                     // 000000003654: 92295402
	s_add_u32 s40, s40, s41                                    // 000000003658: 80282928
	s_add_u32 s20, s40, s20                                    // 00000000365C: 80141428
	s_addc_u32 s21, s42, s21                                   // 000000003660: 8215152A
	s_mul_i32 s40, s96, s86                                    // 000000003664: 92285660
	s_mul_i32 s40, s4, s40                                     // 000000003668: 92282804
	s_mul_i32 s41, s2, s86                                     // 00000000366C: 92295602
	s_nop 0                                                    // 000000003670: BF800000
	s_add_i32 s40, s40, s41                                    // 000000003674: 81282928
	s_add_u32 s24, s40, s24                                    // 000000003678: 80181828
	s_addc_u32 s25, 0, s25                                     // 00000000367C: 82191980
	s_mul_i32 s40, s4, s48                                     // 000000003680: 92283004
	s_mul_hi_u32 s42, s4, s48                                  // 000000003684: 962A3004
	s_and_b32 s42, s42, 0xffff                                 // 000000003688: 862AFF2A 0000FFFF
	s_mul_i32 s41, s66, s47                                    // 000000003690: 92292F42
	s_add_u32 s40, s40, s41                                    // 000000003694: 80282928
	s_add_u32 s12, s40, s12                                    // 000000003698: 800C0C28
	s_addc_u32 s13, s42, s13                                   // 00000000369C: 820D0D2A
	s_mul_i32 s40, s4, s82                                     // 0000000036A0: 92285204
	s_mul_hi_u32 s42, s4, s82                                  // 0000000036A4: 962A5204
	s_and_b32 s42, s42, 0xffff                                 // 0000000036A8: 862AFF2A 0000FFFF
	s_mul_i32 s41, s66, s81                                    // 0000000036B0: 92295142
	s_add_u32 s40, s40, s41                                    // 0000000036B4: 80282928
	s_add_u32 s16, s40, s16                                    // 0000000036B8: 80101028
	s_addc_u32 s17, s42, s17                                   // 0000000036BC: 8211112A
	s_mov_b32 s52, 0                                           // 0000000036C0: BEB40080
	s_mov_b32 s53, 32                                          // 0000000036C4: BEB500A0
	s_mov_b32 s36, 0                                           // 0000000036C8: BEA40080
	s_mov_b32 s29, 0x3fb8aa3b                                  // 0000000036CC: BE9D00FF 3FB8AA3B
	v_mov_b32_e32 v55, 0xff800000                              // 0000000036D4: 7E6E02FF FF800000
	s_mov_b32 s59, 0                                           // 0000000036DC: BEBB0080
	s_lshr_b32 s54, s7, 5                                      // 0000000036E0: 8F368507
	s_lshl_b32 s54, s54, 5                                     // 0000000036E4: 8E368536
	v_lshrrev_b32_e32 v40, 5, v0                               // 0000000036E8: 20500085
	v_mul_i32_i24_e32 v54, 4, v40                              // 0000000036EC: 0C6C5084
	s_add_u32 s38, s3, 1                                       // 0000000036F0: 80268103
	s_lshl_b32 s38, s38, 7                                     // 0000000036F4: 8E268726
	s_lshl_b32 s51, s3, 7                                      // 0000000036F8: 8E338703
	s_sub_i32 s40, s7, s30                                     // 0000000036FC: 81A81E07
	s_add_i32 s51, s51, s40                                    // 000000003700: 81332833
	s_ashr_i32 s51, s51, 5                                     // 000000003704: 90338533
	s_lshl_b32 s51, s51, 5                                     // 000000003708: 8E338533
	s_add_i32 s38, s38, s40                                    // 00000000370C: 81262826
	s_cmp_lt_i32 s38, s7                                       // 000000003710: BF040726
	s_cselect_b32 s38, s38, s7                                 // 000000003714: 85260726
	s_cmp_lt_i32 s38, 32                                       // 000000003718: BF04A026
	s_cselect_b32 s38, 32, s38                                 // 00000000371C: 852626A0
	s_nop 0                                                    // 000000003720: BF800000
	s_nop 0                                                    // 000000003724: BF800000
	s_mul_i32 s40, s5, 32                                      // 000000003728: 9228A005
	v_lshrrev_b32_e32 v40, 5, v0                               // 00000000372C: 20500085
	v_mul_i32_i24_e32 v40, 4, v40                              // 000000003730: 0C505084
	v_and_b32_e32 v53, 31, v0                                  // 000000003734: 266A009F
	v_sub_i32 v53, v53, v40                                    // 000000003738: D29D0035 00025135
	s_nop 0                                                    // 000000003740: BF800000
	v_add_i32 v53, v53, s40                                    // 000000003744: D29C0035 00005135
	s_nop 0                                                    // 00000000374C: BF800000
	s_mov_b32 s39, 0                                           // 000000003750: BEA70080
	v_mov_b32_e32 v41, s29                                     // 000000003754: 7E52021D
	v_mov_b32_e32 v40, s28                                     // 000000003758: 7E50021C
	v_mul_f32_e32 v40, s29, v40                                // 00000000375C: 0A50501D
	v_rcp_f32_e32 v41, v41                                     // 000000003760: 7E524529
	v_mov_b32_e32 v46, 0                                       // 000000003764: 7E5C0280
	v_mov_b32_e32 v52, 0xff7fffff                              // 000000003768: 7E6802FF FF7FFFFF
	v_mov_b32_e32 v44, 0                                       // 000000003770: 7E580280
	v_mov_b32_e32 v46, 0                                       // 000000003774: 7E5C0280
	v_readfirstlane_b32 s56, v40                               // 000000003778: 7E700528
	v_readfirstlane_b32 s45, v41                               // 00000000377C: 7E5A0529
	v_rcp_f32_e32 v40, v40                                     // 000000003780: 7E504528
	s_nop 1                                                    // 000000003784: BF800001
	v_mul_f32_e32 v40, v52, v40                                // 000000003788: 0A505134
	v_max_f32_e32 v52, v52, v40                                // 00000000378C: 16685134
	s_mul_i32 s63, s3, s31                                     // 000000003790: 923F1F03
	v_lshrrev_b32_e32 v40, 5, v0                               // 000000003794: 20500085
	v_lshlrev_b32_e32 v40, 4, v40                              // 000000003798: 24505084
	v_mul_i32_i24_e64 v40, v40, s62                            // 00000000379C: D1060028 00007D28
	v_and_b32_e32 v4, 31, v0                                   // 0000000037A4: 2608009F
	v_lshlrev_b32_e32 v4, 2, v4                                // 0000000037A8: 24080882
	v_add_u32_e32 v4, v40, v4                                  // 0000000037AC: 68080928
	s_mul_i32 s41, s5, s62                                     // 0000000037B0: 92293E05
	v_add_u32_e32 v4, s41, v4                                  // 0000000037B4: 68080829
	s_mul_i32 s40, 4, s62                                      // 0000000037B8: 92283E84
	v_add_u32_e32 v5, s40, v4                                  // 0000000037BC: 680A0828
	v_add_u32_e32 v6, s40, v5                                  // 0000000037C0: 680C0A28
	v_add_u32_e32 v7, s40, v6                                  // 0000000037C4: 680E0C28
	v_add_u32_e32 v8, 0x80, v4                                 // 0000000037C8: 681008FF 00000080
	v_add_u32_e32 v9, 0x80, v5                                 // 0000000037D0: 68120AFF 00000080
	v_add_u32_e32 v10, 0x80, v6                                // 0000000037D8: 68140CFF 00000080
	v_add_u32_e32 v11, 0x80, v7                                // 0000000037E0: 68160EFF 00000080
	v_add_u32_e32 v12, 0x80, v8                                // 0000000037E8: 681810FF 00000080
	v_add_u32_e32 v13, 0x80, v9                                // 0000000037F0: 681A12FF 00000080
	v_add_u32_e32 v14, 0x80, v10                               // 0000000037F8: 681C14FF 00000080
	v_add_u32_e32 v15, 0x80, v11                               // 000000003800: 681E16FF 00000080
	v_add_u32_e32 v4, s63, v4                                  // 000000003808: 6808083F
	v_add_u32_e32 v5, s63, v5                                  // 00000000380C: 680A0A3F
	v_add_u32_e32 v6, s63, v6                                  // 000000003810: 680C0C3F
	v_add_u32_e32 v7, s63, v7                                  // 000000003814: 680E0E3F
	v_add_u32_e32 v8, s63, v8                                  // 000000003818: 6810103F
	v_add_u32_e32 v9, s63, v9                                  // 00000000381C: 6812123F
	v_add_u32_e32 v10, s63, v10                                // 000000003820: 6814143F
	v_add_u32_e32 v11, s63, v11                                // 000000003824: 6816163F
	v_add_u32_e32 v12, s63, v12                                // 000000003828: 6818183F
	v_add_u32_e32 v13, s63, v13                                // 00000000382C: 681A1A3F
	v_add_u32_e32 v14, s63, v14                                // 000000003830: 681C1C3F
	v_add_u32_e32 v15, s63, v15                                // 000000003834: 681E1E3F
	s_mul_i32 s40, s5, 0x110                                   // 000000003838: 9228FF05 00000110
	s_add_u32 s55, 0, s40                                      // 000000003840: 80372880
	s_mov_b32 s57, s56                                         // 000000003844: BEB90038
	s_mov_b32 s40, 0                                           // 000000003848: BEA80080
	s_add_u32 s58, s40, s55                                    // 00000000384C: 803A3728
	s_mul_i32 s59, 0, s62                                      // 000000003850: 923B3E80
	s_mov_b32 m0, s58                                          // 000000003854: BEFC003A
	buffer_load_dword v4, s[8:11], s59 offen lds               // 000000003858: E0511000 3B020004
	s_add_u32 m0, 0x440, m0                                    // 000000003860: 807C7CFF 00000440
	buffer_load_dword v5, s[8:11], s59 offen lds               // 000000003868: E0511000 3B020005
	s_add_u32 m0, 0x440, m0                                    // 000000003870: 807C7CFF 00000440
	buffer_load_dword v6, s[8:11], s59 offen lds               // 000000003878: E0511000 3B020006
	s_add_u32 m0, 0x440, m0                                    // 000000003880: 807C7CFF 00000440
	buffer_load_dword v7, s[8:11], s59 offen lds               // 000000003888: E0511000 3B020007
	s_add_u32 m0, 0x440, m0                                    // 000000003890: 807C7CFF 00000440
	buffer_load_dword v8, s[8:11], s59 offen lds               // 000000003898: E0511000 3B020008
	s_add_u32 m0, 0x440, m0                                    // 0000000038A0: 807C7CFF 00000440
	buffer_load_dword v9, s[8:11], s59 offen lds               // 0000000038A8: E0511000 3B020009
	s_add_u32 m0, 0x440, m0                                    // 0000000038B0: 807C7CFF 00000440
	buffer_load_dword v10, s[8:11], s59 offen lds              // 0000000038B8: E0511000 3B02000A
	s_add_u32 m0, 0x440, m0                                    // 0000000038C0: 807C7CFF 00000440
	buffer_load_dword v11, s[8:11], s59 offen lds              // 0000000038C8: E0511000 3B02000B
	s_add_u32 m0, 0x440, m0                                    // 0000000038D0: 807C7CFF 00000440
	buffer_load_dword v12, s[8:11], s59 offen lds              // 0000000038D8: E0511000 3B02000C
	s_add_u32 m0, 0x440, m0                                    // 0000000038E0: 807C7CFF 00000440
	buffer_load_dword v13, s[8:11], s59 offen lds              // 0000000038E8: E0511000 3B02000D
	s_add_u32 m0, 0x440, m0                                    // 0000000038F0: 807C7CFF 00000440
	buffer_load_dword v14, s[8:11], s59 offen lds              // 0000000038F8: E0511000 3B02000E
	s_add_u32 m0, 0x440, m0                                    // 000000003900: 807C7CFF 00000440
	buffer_load_dword v15, s[8:11], s59 offen lds              // 000000003908: E0511000 3B02000F
	s_mov_b32 s40, 0x3300                                      // 000000003910: BEA800FF 00003300
	s_add_u32 s58, s40, s55                                    // 000000003918: 803A3728
	s_mul_i32 s59, 32, s62                                     // 00000000391C: 923B3EA0
	s_nop 0                                                    // 000000003920: BF800000
	s_mov_b32 m0, s58                                          // 000000003924: BEFC003A
	buffer_load_dword v4, s[8:11], s59 offen lds               // 000000003928: E0511000 3B020004
	s_add_u32 m0, 0x440, m0                                    // 000000003930: 807C7CFF 00000440
	buffer_load_dword v5, s[8:11], s59 offen lds               // 000000003938: E0511000 3B020005
	s_add_u32 m0, 0x440, m0                                    // 000000003940: 807C7CFF 00000440
	buffer_load_dword v6, s[8:11], s59 offen lds               // 000000003948: E0511000 3B020006
	s_add_u32 m0, 0x440, m0                                    // 000000003950: 807C7CFF 00000440
	buffer_load_dword v7, s[8:11], s59 offen lds               // 000000003958: E0511000 3B020007
	s_add_u32 m0, 0x440, m0                                    // 000000003960: 807C7CFF 00000440
	buffer_load_dword v8, s[8:11], s59 offen lds               // 000000003968: E0511000 3B020008
	s_add_u32 m0, 0x440, m0                                    // 000000003970: 807C7CFF 00000440
	buffer_load_dword v9, s[8:11], s59 offen lds               // 000000003978: E0511000 3B020009
	s_add_u32 m0, 0x440, m0                                    // 000000003980: 807C7CFF 00000440
	buffer_load_dword v10, s[8:11], s59 offen lds              // 000000003988: E0511000 3B02000A
	s_add_u32 m0, 0x440, m0                                    // 000000003990: 807C7CFF 00000440
	buffer_load_dword v11, s[8:11], s59 offen lds              // 000000003998: E0511000 3B02000B
	s_add_u32 m0, 0x440, m0                                    // 0000000039A0: 807C7CFF 00000440
	buffer_load_dword v12, s[8:11], s59 offen lds              // 0000000039A8: E0511000 3B02000C
	s_add_u32 m0, 0x440, m0                                    // 0000000039B0: 807C7CFF 00000440
	buffer_load_dword v13, s[8:11], s59 offen lds              // 0000000039B8: E0511000 3B02000D
	s_add_u32 m0, 0x440, m0                                    // 0000000039C0: 807C7CFF 00000440
	buffer_load_dword v14, s[8:11], s59 offen lds              // 0000000039C8: E0511000 3B02000E
	s_add_u32 m0, 0x440, m0                                    // 0000000039D0: 807C7CFF 00000440
	buffer_load_dword v15, s[8:11], s59 offen lds              // 0000000039D8: E0511000 3B02000F
	s_mov_b32 s40, 0x6600                                      // 0000000039E0: BEA800FF 00006600
	s_add_u32 s58, s40, s55                                    // 0000000039E8: 803A3728
	s_mul_i32 s59, 64, s62                                     // 0000000039EC: 923B3EC0
	s_nop 0                                                    // 0000000039F0: BF800000
	s_mov_b32 m0, s58                                          // 0000000039F4: BEFC003A
	buffer_load_dword v4, s[8:11], s59 offen lds               // 0000000039F8: E0511000 3B020004
	s_add_u32 m0, 0x440, m0                                    // 000000003A00: 807C7CFF 00000440
	buffer_load_dword v5, s[8:11], s59 offen lds               // 000000003A08: E0511000 3B020005
	s_add_u32 m0, 0x440, m0                                    // 000000003A10: 807C7CFF 00000440
	buffer_load_dword v6, s[8:11], s59 offen lds               // 000000003A18: E0511000 3B020006
	s_add_u32 m0, 0x440, m0                                    // 000000003A20: 807C7CFF 00000440
	buffer_load_dword v7, s[8:11], s59 offen lds               // 000000003A28: E0511000 3B020007
	s_add_u32 m0, 0x440, m0                                    // 000000003A30: 807C7CFF 00000440
	buffer_load_dword v8, s[8:11], s59 offen lds               // 000000003A38: E0511000 3B020008
	s_add_u32 m0, 0x440, m0                                    // 000000003A40: 807C7CFF 00000440
	buffer_load_dword v9, s[8:11], s59 offen lds               // 000000003A48: E0511000 3B020009
	s_add_u32 m0, 0x440, m0                                    // 000000003A50: 807C7CFF 00000440
	buffer_load_dword v10, s[8:11], s59 offen lds              // 000000003A58: E0511000 3B02000A
	s_add_u32 m0, 0x440, m0                                    // 000000003A60: 807C7CFF 00000440
	buffer_load_dword v11, s[8:11], s59 offen lds              // 000000003A68: E0511000 3B02000B
	s_add_u32 m0, 0x440, m0                                    // 000000003A70: 807C7CFF 00000440
	buffer_load_dword v12, s[8:11], s59 offen lds              // 000000003A78: E0511000 3B02000C
	s_add_u32 m0, 0x440, m0                                    // 000000003A80: 807C7CFF 00000440
	buffer_load_dword v13, s[8:11], s59 offen lds              // 000000003A88: E0511000 3B02000D
	s_add_u32 m0, 0x440, m0                                    // 000000003A90: 807C7CFF 00000440
	buffer_load_dword v14, s[8:11], s59 offen lds              // 000000003A98: E0511000 3B02000E
	s_add_u32 m0, 0x440, m0                                    // 000000003AA0: 807C7CFF 00000440
	buffer_load_dword v15, s[8:11], s59 offen lds              // 000000003AA8: E0511000 3B02000F
	s_mov_b32 s40, 0x9900                                      // 000000003AB0: BEA800FF 00009900
	s_add_u32 s58, s40, s55                                    // 000000003AB8: 803A3728
	s_mul_i32 s59, 0x60, s62                                   // 000000003ABC: 923B3EFF 00000060
	s_mov_b32 m0, s58                                          // 000000003AC4: BEFC003A
	buffer_load_dword v4, s[8:11], s59 offen lds               // 000000003AC8: E0511000 3B020004
	s_add_u32 m0, 0x440, m0                                    // 000000003AD0: 807C7CFF 00000440
	buffer_load_dword v5, s[8:11], s59 offen lds               // 000000003AD8: E0511000 3B020005
	s_add_u32 m0, 0x440, m0                                    // 000000003AE0: 807C7CFF 00000440
	buffer_load_dword v6, s[8:11], s59 offen lds               // 000000003AE8: E0511000 3B020006
	s_add_u32 m0, 0x440, m0                                    // 000000003AF0: 807C7CFF 00000440
	buffer_load_dword v7, s[8:11], s59 offen lds               // 000000003AF8: E0511000 3B020007
	s_add_u32 m0, 0x440, m0                                    // 000000003B00: 807C7CFF 00000440
	buffer_load_dword v8, s[8:11], s59 offen lds               // 000000003B08: E0511000 3B020008
	s_add_u32 m0, 0x440, m0                                    // 000000003B10: 807C7CFF 00000440
	buffer_load_dword v9, s[8:11], s59 offen lds               // 000000003B18: E0511000 3B020009
	s_add_u32 m0, 0x440, m0                                    // 000000003B20: 807C7CFF 00000440
	buffer_load_dword v10, s[8:11], s59 offen lds              // 000000003B28: E0511000 3B02000A
	s_add_u32 m0, 0x440, m0                                    // 000000003B30: 807C7CFF 00000440
	buffer_load_dword v11, s[8:11], s59 offen lds              // 000000003B38: E0511000 3B02000B
	s_add_u32 m0, 0x440, m0                                    // 000000003B40: 807C7CFF 00000440
	buffer_load_dword v12, s[8:11], s59 offen lds              // 000000003B48: E0511000 3B02000C
	s_add_u32 m0, 0x440, m0                                    // 000000003B50: 807C7CFF 00000440
	buffer_load_dword v13, s[8:11], s59 offen lds              // 000000003B58: E0511000 3B02000D
	s_add_u32 m0, 0x440, m0                                    // 000000003B60: 807C7CFF 00000440
	buffer_load_dword v14, s[8:11], s59 offen lds              // 000000003B68: E0511000 3B02000E
	s_add_u32 m0, 0x440, m0                                    // 000000003B70: 807C7CFF 00000440
	buffer_load_dword v15, s[8:11], s59 offen lds              // 000000003B78: E0511000 3B02000F
	v_mov_b32_e32 v100, 0                                      // 000000003B80: 7EC80280
	v_mov_b32_e32 v101, 0                                      // 000000003B84: 7ECA0280
	v_mov_b32_e32 v102, 0                                      // 000000003B88: 7ECC0280
	v_mov_b32_e32 v103, 0                                      // 000000003B8C: 7ECE0280
	v_mov_b32_e32 v104, 0                                      // 000000003B90: 7ED00280
	v_mov_b32_e32 v105, 0                                      // 000000003B94: 7ED20280
	v_mov_b32_e32 v106, 0                                      // 000000003B98: 7ED40280
	v_mov_b32_e32 v107, 0                                      // 000000003B9C: 7ED60280
	v_mov_b32_e32 v108, 0                                      // 000000003BA0: 7ED80280
	v_mov_b32_e32 v109, 0                                      // 000000003BA4: 7EDA0280
	v_mov_b32_e32 v110, 0                                      // 000000003BA8: 7EDC0280
	v_mov_b32_e32 v111, 0                                      // 000000003BAC: 7EDE0280
	v_mov_b32_e32 v112, 0                                      // 000000003BB0: 7EE00280
	v_mov_b32_e32 v113, 0                                      // 000000003BB4: 7EE20280
	v_mov_b32_e32 v114, 0                                      // 000000003BB8: 7EE40280
	v_mov_b32_e32 v115, 0                                      // 000000003BBC: 7EE60280
	v_mov_b32_e32 v116, 0                                      // 000000003BC0: 7EE80280
	v_mov_b32_e32 v117, 0                                      // 000000003BC4: 7EEA0280
	v_mov_b32_e32 v118, 0                                      // 000000003BC8: 7EEC0280
	v_mov_b32_e32 v119, 0                                      // 000000003BCC: 7EEE0280
	v_mov_b32_e32 v120, 0                                      // 000000003BD0: 7EF00280
	v_mov_b32_e32 v121, 0                                      // 000000003BD4: 7EF20280
	v_mov_b32_e32 v122, 0                                      // 000000003BD8: 7EF40280
	v_mov_b32_e32 v123, 0                                      // 000000003BDC: 7EF60280
	v_mov_b32_e32 v124, 0                                      // 000000003BE0: 7EF80280
	v_mov_b32_e32 v125, 0                                      // 000000003BE4: 7EFA0280
	v_mov_b32_e32 v126, 0                                      // 000000003BE8: 7EFC0280
	v_mov_b32_e32 v127, 0                                      // 000000003BEC: 7EFE0280
	v_mov_b32_e32 v128, 0                                      // 000000003BF0: 7F000280
	v_mov_b32_e32 v129, 0                                      // 000000003BF4: 7F020280
	v_mov_b32_e32 v130, 0                                      // 000000003BF8: 7F040280
	v_mov_b32_e32 v131, 0                                      // 000000003BFC: 7F060280
	v_mov_b32_e32 v132, 0                                      // 000000003C00: 7F080280
	v_mov_b32_e32 v133, 0                                      // 000000003C04: 7F0A0280
	v_mov_b32_e32 v134, 0                                      // 000000003C08: 7F0C0280
	v_mov_b32_e32 v135, 0                                      // 000000003C0C: 7F0E0280
	v_mov_b32_e32 v136, 0                                      // 000000003C10: 7F100280
	v_mov_b32_e32 v137, 0                                      // 000000003C14: 7F120280
	v_mov_b32_e32 v138, 0                                      // 000000003C18: 7F140280
	v_mov_b32_e32 v139, 0                                      // 000000003C1C: 7F160280
	v_mov_b32_e32 v140, 0                                      // 000000003C20: 7F180280
	v_mov_b32_e32 v141, 0                                      // 000000003C24: 7F1A0280
	v_mov_b32_e32 v142, 0                                      // 000000003C28: 7F1C0280
	v_mov_b32_e32 v143, 0                                      // 000000003C2C: 7F1E0280
	v_mov_b32_e32 v144, 0                                      // 000000003C30: 7F200280
	v_mov_b32_e32 v145, 0                                      // 000000003C34: 7F220280
	v_mov_b32_e32 v146, 0                                      // 000000003C38: 7F240280
	v_mov_b32_e32 v147, 0                                      // 000000003C3C: 7F260280
	v_mov_b32_e32 v148, 0                                      // 000000003C40: 7F280280
	v_mov_b32_e32 v149, 0                                      // 000000003C44: 7F2A0280
	v_mov_b32_e32 v150, 0                                      // 000000003C48: 7F2C0280
	v_mov_b32_e32 v151, 0                                      // 000000003C4C: 7F2E0280
	v_mov_b32_e32 v152, 0                                      // 000000003C50: 7F300280
	v_mov_b32_e32 v153, 0                                      // 000000003C54: 7F320280
	v_mov_b32_e32 v154, 0                                      // 000000003C58: 7F340280
	v_mov_b32_e32 v155, 0                                      // 000000003C5C: 7F360280
	v_mov_b32_e32 v156, 0                                      // 000000003C60: 7F380280
	v_mov_b32_e32 v157, 0                                      // 000000003C64: 7F3A0280
	v_mov_b32_e32 v158, 0                                      // 000000003C68: 7F3C0280
	v_mov_b32_e32 v159, 0                                      // 000000003C6C: 7F3E0280
	v_mov_b32_e32 v160, 0                                      // 000000003C70: 7F400280
	v_mov_b32_e32 v161, 0                                      // 000000003C74: 7F420280
	v_mov_b32_e32 v162, 0                                      // 000000003C78: 7F440280
	v_mov_b32_e32 v163, 0                                      // 000000003C7C: 7F460280
	s_cmp_le_u32 s7, 0                                         // 000000003C80: BF0B8007
	s_cbranch_scc1 label_10B8                                  // 000000003C84: BF850E56
	v_lshrrev_b32_e32 v40, 5, v0                               // 000000003C88: 20500085
	v_mul_i32_i24_e32 v41, 4, v40                              // 000000003C8C: 0C525084
	v_and_b32_e32 v40, 31, v0                                  // 000000003C90: 2650009F
	v_lshrrev_b32_e32 v42, 4, v40                              // 000000003C94: 20545084
	v_mul_i32_i24_e32 v42, 32, v42                             // 000000003C98: 0C5454A0
	v_and_b32_e32 v43, 15, v40                                 // 000000003C9C: 2656508F
	v_mul_i32_i24_e32 v2, 0x44, v43                            // 000000003CA0: 0C0456FF 00000044
	v_add_u32_e32 v2, v2, v42                                  // 000000003CA8: 68045502
	v_add_u32_e32 v2, v2, v41                                  // 000000003CAC: 68045302
	v_lshlrev_b32_e32 v2, 2, v2                                // 000000003CB0: 24040482
	s_and_b32 s40, 3, s5                                       // 000000003CB4: 86280583
	s_mul_i32 s40, s40, 0x3300                                 // 000000003CB8: 9228FF28 00003300
	v_add_u32_e32 v2, s40, v2                                  // 000000003CC0: 68040428
	v_lshrrev_b32_e32 v40, 5, v0                               // 000000003CC4: 20500085
	v_mul_i32_i24_e32 v41, 4, v40                              // 000000003CC8: 0C525084
	v_and_b32_e32 v40, 31, v0                                  // 000000003CCC: 2650009F
	v_lshrrev_b32_e32 v42, 4, v40                              // 000000003CD0: 20545084
	v_mul_i32_i24_e32 v42, 32, v42                             // 000000003CD4: 0C5454A0
	v_and_b32_e32 v43, 15, v40                                 // 000000003CD8: 2656508F
	v_mul_i32_i24_e32 v36, 0x44, v43                           // 000000003CDC: 0C4856FF 00000044
	v_add_u32_e32 v36, v36, v42                                // 000000003CE4: 68485524
	v_add_u32_e32 v36, v36, v41                                // 000000003CE8: 68485324
	v_lshlrev_b32_e32 v36, 2, v36                              // 000000003CEC: 24484882
	v_lshrrev_b32_e32 v40, 5, v0                               // 000000003CF0: 20500085
	v_mul_i32_i24_e32 v41, 0x100, v40                          // 000000003CF4: 0C5250FF 00000100
	v_and_b32_e32 v40, 30, v0                                  // 000000003CFC: 2650009E
	v_lshlrev_b32_e32 v40, 1, v40                              // 000000003D00: 24505081
	v_add_u32_e32 v37, v41, v40                                // 000000003D04: 684A5129
	v_and_b32_e32 v40, 1, v0                                   // 000000003D08: 26500081
	v_mul_i32_i24_e32 v40, 0x410, v40                          // 000000003D0C: 0C5050FF 00000410
	v_add_u32_e32 v37, v40, v37                                // 000000003D14: 684A4B28
	v_lshlrev_b32_e32 v37, 2, v37                              // 000000003D18: 244A4A82
	v_lshlrev_b32_e32 v38, 2, v0                               // 000000003D1C: 244C0082
	s_mul_i32 s40, s5, 0x100                                   // 000000003D20: 9228FF05 00000100
	v_add_u32_e32 v38, s40, v38                                // 000000003D28: 684C4C28
	v_lshlrev_b32_e32 v38, 2, v38                              // 000000003D2C: 244C4C82
	v_lshrrev_b32_e32 v40, 5, v0                               // 000000003D30: 20500085
	v_lshlrev_b32_e32 v40, 4, v40                              // 000000003D34: 24505084
	v_mul_i32_i24_e64 v40, v40, s61                            // 000000003D38: D1060028 00007B28
	v_and_b32_e32 v16, 31, v0                                  // 000000003D40: 2620009F
	v_lshlrev_b32_e32 v16, 2, v16                              // 000000003D44: 24202082
	v_add_u32_e32 v16, v40, v16                                // 000000003D48: 68202128
	s_mul_i32 s41, s5, s61                                     // 000000003D4C: 92293D05
	v_add_u32_e32 v16, s41, v16                                // 000000003D50: 68202029
	s_mul_i32 s40, 4, s61                                      // 000000003D54: 92283D84
	v_add_u32_e32 v17, s40, v16                                // 000000003D58: 68222028
	v_add_u32_e32 v18, s40, v17                                // 000000003D5C: 68242228
	v_add_u32_e32 v19, s40, v18                                // 000000003D60: 68262428
	v_add_u32_e32 v20, 0x80, v16                               // 000000003D64: 682820FF 00000080
	v_add_u32_e32 v21, 0x80, v17                               // 000000003D6C: 682A22FF 00000080
	v_add_u32_e32 v22, 0x80, v18                               // 000000003D74: 682C24FF 00000080
	v_add_u32_e32 v23, 0x80, v19                               // 000000003D7C: 682E26FF 00000080
	v_add_u32_e32 v24, 0x80, v20                               // 000000003D84: 683028FF 00000080
	v_add_u32_e32 v25, 0x80, v21                               // 000000003D8C: 68322AFF 00000080
	v_add_u32_e32 v26, 0x80, v22                               // 000000003D94: 68342CFF 00000080
	v_add_u32_e32 v27, 0x80, v23                               // 000000003D9C: 68362EFF 00000080
	s_mul_i32 s40, s5, 0x110                                   // 000000003DA4: 9228FF05 00000110
	s_add_u32 s68, 0, s40                                      // 000000003DAC: 80442880
	s_add_u32 s69, 0x3300, s68                                 // 000000003DB0: 804544FF 00003300
	v_lshlrev_b32_e32 v28, 2, v0                               // 000000003DB8: 24380082
	s_and_b32 s40, 1, s5                                       // 000000003DBC: 86280581
	s_lshl_b32 s40, s40, 2                                     // 000000003DC0: 8E288228
	s_lshr_b32 s41, s5, 1                                      // 000000003DC4: 8F298105
	s_lshl_b32 s41, s41, 4                                     // 000000003DC8: 8E298429
	s_add_i32 s40, s40, s41                                    // 000000003DCC: 81282928
	s_mul_i32 s40, s40, s80                                    // 000000003DD0: 92285028
	v_add_u32_e32 v28, s40, v28                                // 000000003DD4: 68383828
	v_add_u32_e32 v29, s80, v28                                // 000000003DD8: 683A3850
	v_add_u32_e32 v30, s80, v29                                // 000000003DDC: 683C3A50
	v_add_u32_e32 v31, s80, v30                                // 000000003DE0: 683E3C50
	s_mul_i32 s40, s80, 8                                      // 000000003DE4: 92288850
	v_add_u32_e32 v32, s40, v28                                // 000000003DE8: 68403828
	v_add_u32_e32 v33, s40, v29                                // 000000003DEC: 68423A28
	v_add_u32_e32 v34, s40, v30                                // 000000003DF0: 68443C28
	v_add_u32_e32 v35, s40, v31                                // 000000003DF4: 68463E28
	s_waitcnt vmcnt(24)                                        // 000000003DF8: BF8C4F78
	s_barrier                                                  // 000000003DFC: BF8A0000
	s_cmp_lt_i32 s5, 2                                         // 000000003E00: BF048205
	s_cbranch_scc0 label_02DA                                  // 000000003E04: BF840018
	ds_read_b128 a[0:3], v2                                    // 000000003E08: DBFE0000 00000002
	ds_read_b128 a[4:7], v2 offset:32                          // 000000003E10: DBFE0020 04000002
	ds_read_b128 a[8:11], v2 offset:64                         // 000000003E18: DBFE0040 08000002
	ds_read_b128 a[12:15], v2 offset:96                        // 000000003E20: DBFE0060 0C000002
	ds_read_b128 a[16:19], v2 offset:4352                      // 000000003E28: DBFE1100 10000002
	ds_read_b128 a[20:23], v2 offset:4384                      // 000000003E30: DBFE1120 14000002
	ds_read_b128 a[24:27], v2 offset:4416                      // 000000003E38: DBFE1140 18000002
	ds_read_b128 a[28:31], v2 offset:4448                      // 000000003E40: DBFE1160 1C000002
	ds_read_b128 a[32:35], v2 offset:8704                      // 000000003E48: DBFE2200 20000002
	ds_read_b128 a[36:39], v2 offset:8736                      // 000000003E50: DBFE2220 24000002
	ds_read_b128 a[40:43], v2 offset:8768                      // 000000003E58: DBFE2240 28000002
	ds_read_b128 a[44:47], v2 offset:8800                      // 000000003E60: DBFE2260 2C000002

0000000000003e68 <label_02DA>:
	s_waitcnt lgkmcnt(0)                                       // 000000003E68: BF8CC07F
	s_barrier                                                  // 000000003E6C: BF8A0000
	s_nop 0                                                    // 000000003E70: BF800000
	s_mov_b32 m0, s68                                          // 000000003E74: BEFC0044
	buffer_load_dword v16, s[12:15], s60 offen lds             // 000000003E78: E0511000 3C030010
	s_add_u32 m0, 0x440, m0                                    // 000000003E80: 807C7CFF 00000440
	buffer_load_dword v17, s[12:15], s60 offen lds             // 000000003E88: E0511000 3C030011
	s_add_u32 m0, 0x440, m0                                    // 000000003E90: 807C7CFF 00000440
	buffer_load_dword v18, s[12:15], s60 offen lds             // 000000003E98: E0511000 3C030012
	s_add_u32 m0, 0x440, m0                                    // 000000003EA0: 807C7CFF 00000440
	buffer_load_dword v19, s[12:15], s60 offen lds             // 000000003EA8: E0511000 3C030013
	s_add_u32 m0, 0x440, m0                                    // 000000003EB0: 807C7CFF 00000440
	buffer_load_dword v20, s[12:15], s60 offen lds             // 000000003EB8: E0511000 3C030014
	s_add_u32 m0, 0x440, m0                                    // 000000003EC0: 807C7CFF 00000440
	buffer_load_dword v21, s[12:15], s60 offen lds             // 000000003EC8: E0511000 3C030015
	s_add_u32 m0, 0x440, m0                                    // 000000003ED0: 807C7CFF 00000440
	buffer_load_dword v22, s[12:15], s60 offen lds             // 000000003ED8: E0511000 3C030016
	s_add_u32 m0, 0x440, m0                                    // 000000003EE0: 807C7CFF 00000440
	buffer_load_dword v23, s[12:15], s60 offen lds             // 000000003EE8: E0511000 3C030017
	s_add_u32 m0, 0x440, m0                                    // 000000003EF0: 807C7CFF 00000440
	buffer_load_dword v24, s[12:15], s60 offen lds             // 000000003EF8: E0511000 3C030018
	s_add_u32 m0, 0x440, m0                                    // 000000003F00: 807C7CFF 00000440
	buffer_load_dword v25, s[12:15], s60 offen lds             // 000000003F08: E0511000 3C030019
	s_add_u32 m0, 0x440, m0                                    // 000000003F10: 807C7CFF 00000440
	buffer_load_dword v26, s[12:15], s60 offen lds             // 000000003F18: E0511000 3C03001A
	s_add_u32 m0, 0x440, m0                                    // 000000003F20: 807C7CFF 00000440
	buffer_load_dword v27, s[12:15], s60 offen lds             // 000000003F28: E0511000 3C03001B
	s_add_i32 s60, s43, s60                                    // 000000003F30: 813C3C2B
	s_mov_b32 m0, s69                                          // 000000003F34: BEFC0045
	buffer_load_dword v16, s[12:15], s60 offen lds             // 000000003F38: E0511000 3C030010
	s_add_u32 m0, 0x440, m0                                    // 000000003F40: 807C7CFF 00000440
	buffer_load_dword v17, s[12:15], s60 offen lds             // 000000003F48: E0511000 3C030011
	s_add_u32 m0, 0x440, m0                                    // 000000003F50: 807C7CFF 00000440
	buffer_load_dword v18, s[12:15], s60 offen lds             // 000000003F58: E0511000 3C030012
	s_add_u32 m0, 0x440, m0                                    // 000000003F60: 807C7CFF 00000440
	buffer_load_dword v19, s[12:15], s60 offen lds             // 000000003F68: E0511000 3C030013
	s_add_u32 m0, 0x440, m0                                    // 000000003F70: 807C7CFF 00000440
	buffer_load_dword v20, s[12:15], s60 offen lds             // 000000003F78: E0511000 3C030014
	s_add_u32 m0, 0x440, m0                                    // 000000003F80: 807C7CFF 00000440
	buffer_load_dword v21, s[12:15], s60 offen lds             // 000000003F88: E0511000 3C030015
	s_add_u32 m0, 0x440, m0                                    // 000000003F90: 807C7CFF 00000440
	buffer_load_dword v22, s[12:15], s60 offen lds             // 000000003F98: E0511000 3C030016
	s_add_u32 m0, 0x440, m0                                    // 000000003FA0: 807C7CFF 00000440
	buffer_load_dword v23, s[12:15], s60 offen lds             // 000000003FA8: E0511000 3C030017
	s_add_u32 m0, 0x440, m0                                    // 000000003FB0: 807C7CFF 00000440
	buffer_load_dword v24, s[12:15], s60 offen lds             // 000000003FB8: E0511000 3C030018
	s_add_u32 m0, 0x440, m0                                    // 000000003FC0: 807C7CFF 00000440
	buffer_load_dword v25, s[12:15], s60 offen lds             // 000000003FC8: E0511000 3C030019
	s_add_u32 m0, 0x440, m0                                    // 000000003FD0: 807C7CFF 00000440
	buffer_load_dword v26, s[12:15], s60 offen lds             // 000000003FD8: E0511000 3C03001A
	s_add_u32 m0, 0x440, m0                                    // 000000003FE0: 807C7CFF 00000440
	buffer_load_dword v27, s[12:15], s60 offen lds             // 000000003FE8: E0511000 3C03001B
	s_add_i32 s60, s43, s60                                    // 000000003FF0: 813C3C2B
	s_waitcnt vmcnt(24)                                        // 000000003FF4: BF8C4F78
	s_barrier                                                  // 000000003FF8: BF8A0000
	s_cmp_lt_i32 s5, 2                                         // 000000003FFC: BF048205
	s_cbranch_scc1 label_035A                                  // 000000004000: BF850019
	s_nop 0                                                    // 000000004004: BF800000
	ds_read_b128 a[0:3], v2                                    // 000000004008: DBFE0000 00000002
	ds_read_b128 a[4:7], v2 offset:32                          // 000000004010: DBFE0020 04000002
	ds_read_b128 a[8:11], v2 offset:64                         // 000000004018: DBFE0040 08000002
	ds_read_b128 a[12:15], v2 offset:96                        // 000000004020: DBFE0060 0C000002
	ds_read_b128 a[16:19], v2 offset:4352                      // 000000004028: DBFE1100 10000002
	ds_read_b128 a[20:23], v2 offset:4384                      // 000000004030: DBFE1120 14000002
	ds_read_b128 a[24:27], v2 offset:4416                      // 000000004038: DBFE1140 18000002
	ds_read_b128 a[28:31], v2 offset:4448                      // 000000004040: DBFE1160 1C000002
	ds_read_b128 a[32:35], v2 offset:8704                      // 000000004048: DBFE2200 20000002
	ds_read_b128 a[36:39], v2 offset:8736                      // 000000004050: DBFE2220 24000002
	ds_read_b128 a[40:43], v2 offset:8768                      // 000000004058: DBFE2240 28000002
	ds_read_b128 a[44:47], v2 offset:8800                      // 000000004060: DBFE2260 2C000002

0000000000004068 <label_035A>:
	s_waitcnt lgkmcnt(0)                                       // 000000004068: BF8CC07F
	s_barrier                                                  // 00000000406C: BF8A0000
	buffer_load_dword v164, v28, s[16:19], s35 offen           // 000000004070: E0501000 2304A41C
	buffer_load_dword v165, v29, s[16:19], s35 offen           // 000000004078: E0501000 2304A51D
	buffer_load_dword v166, v30, s[16:19], s35 offen           // 000000004080: E0501000 2304A61E
	buffer_load_dword v167, v31, s[16:19], s35 offen           // 000000004088: E0501000 2304A71F
	buffer_load_dword v168, v32, s[16:19], s35 offen           // 000000004090: E0501000 2304A820
	buffer_load_dword v169, v33, s[16:19], s35 offen           // 000000004098: E0501000 2304A921
	buffer_load_dword v170, v34, s[16:19], s35 offen           // 0000000040A0: E0501000 2304AA22
	buffer_load_dword v171, v35, s[16:19], s35 offen           // 0000000040A8: E0501000 2304AB23
	s_add_i32 s35, s44, s35                                    // 0000000040B0: 8123232C
	s_waitcnt vmcnt(20)                                        // 0000000040B4: BF8C4F74
	s_barrier                                                  // 0000000040B8: BF8A0000
	s_nop 0                                                    // 0000000040BC: BF800000
	ds_read_b128 a[48:51], v36                                 // 0000000040C0: DBFE0000 30000024
	ds_read_b128 a[52:55], v36 offset:32                       // 0000000040C8: DBFE0020 34000024
	ds_read_b128 a[56:59], v36 offset:64                       // 0000000040D0: DBFE0040 38000024
	ds_read_b128 a[60:63], v36 offset:96                       // 0000000040D8: DBFE0060 3C000024
	ds_read_b128 a[64:67], v36 offset:4352                     // 0000000040E0: DBFE1100 40000024
	ds_read_b128 a[68:71], v36 offset:4384                     // 0000000040E8: DBFE1120 44000024
	ds_read_b128 a[72:75], v36 offset:4416                     // 0000000040F0: DBFE1140 48000024
	ds_read_b128 a[76:79], v36 offset:4448                     // 0000000040F8: DBFE1160 4C000024
	ds_read_b128 a[80:83], v36 offset:8704                     // 000000004100: DBFE2200 50000024
	ds_read_b128 a[84:87], v36 offset:8736                     // 000000004108: DBFE2220 54000024
	ds_read_b128 a[88:91], v36 offset:8768                     // 000000004110: DBFE2240 58000024
	ds_read_b128 a[92:95], v36 offset:8800                     // 000000004118: DBFE2260 5C000024
	buffer_load_dword v172, v28, s[16:19], s35 offen           // 000000004120: E0501000 2304AC1C
	buffer_load_dword v173, v29, s[16:19], s35 offen           // 000000004128: E0501000 2304AD1D
	buffer_load_dword v174, v30, s[16:19], s35 offen           // 000000004130: E0501000 2304AE1E
	buffer_load_dword v175, v31, s[16:19], s35 offen           // 000000004138: E0501000 2304AF1F
	buffer_load_dword v176, v32, s[16:19], s35 offen           // 000000004140: E0501000 2304B020
	buffer_load_dword v177, v33, s[16:19], s35 offen           // 000000004148: E0501000 2304B121
	buffer_load_dword v178, v34, s[16:19], s35 offen           // 000000004150: E0501000 2304B222
	buffer_load_dword v179, v35, s[16:19], s35 offen           // 000000004158: E0501000 2304B323
	s_add_i32 s35, s44, s35                                    // 000000004160: 8123232C
	s_waitcnt vmcnt(8) lgkmcnt(0)                              // 000000004164: BF8C0078
	s_barrier                                                  // 000000004168: BF8A0000
	v_mfma_f32_32x32x8_bf16 v[68:83], a[48:49], a[0:1], 0      // 00000000416C: D3E00044 1A020130
	s_mov_b32 m0, s68                                          // 000000004174: BEFC0044
	buffer_load_dword v16, s[12:15], s60 offen lds             // 000000004178: E0511000 3C030010
	v_perm_b32 v180, v165, v164, s50                           // 000000004180: D1ED00B4 00CB49A5
	v_perm_b32 v184, v165, v164, s49                           // 000000004188: D1ED00B8 00C749A5
	v_perm_b32 v181, v167, v166, s50                           // 000000004190: D1ED00B5 00CB4DA7
	v_perm_b32 v185, v167, v166, s49                           // 000000004198: D1ED00B9 00C74DA7
	v_mfma_f32_32x32x8_bf16 v[68:83], a[50:51], a[2:3], v[68:83]// 0000000041A0: D3E00044 1D120532
	v_perm_b32 v182, v169, v168, s50                           // 0000000041A8: D1ED00B6 00CB51A9
	v_perm_b32 v186, v169, v168, s49                           // 0000000041B0: D1ED00BA 00C751A9
	v_perm_b32 v183, v171, v170, s50                           // 0000000041B8: D1ED00B7 00CB55AB
	v_perm_b32 v187, v171, v170, s49                           // 0000000041C0: D1ED00BB 00C755AB
	v_mfma_f32_32x32x8_bf16 v[68:83], a[52:53], a[4:5], v[68:83]// 0000000041C8: D3E00044 1D120934
	s_add_u32 m0, 0x440, m0                                    // 0000000041D0: 807C7CFF 00000440
	buffer_load_dword v17, s[12:15], s60 offen lds             // 0000000041D8: E0511000 3C030011
	v_mfma_f32_32x32x8_bf16 v[68:83], a[54:55], a[6:7], v[68:83]// 0000000041E0: D3E00044 1D120D36
	ds_write_b128 v38, v[180:183] offset:26112                 // 0000000041E8: D9BE6600 0000B426
	ds_write_b128 v38, v[184:187] offset:30272                 // 0000000041F0: D9BE7640 0000B826
	v_mfma_f32_32x32x8_bf16 v[68:83], a[56:57], a[8:9], v[68:83]// 0000000041F8: D3E00044 1D121138
	s_add_u32 m0, 0x440, m0                                    // 000000004200: 807C7CFF 00000440
	buffer_load_dword v18, s[12:15], s60 offen lds             // 000000004208: E0511000 3C030012
	v_mfma_f32_32x32x8_bf16 v[68:83], a[58:59], a[10:11], v[68:83]// 000000004210: D3E00044 1D12153A
	ds_read_b128 a[96:99], v36 offset:13056                    // 000000004218: DBFE3300 60000024
	ds_read_b128 a[100:103], v36 offset:13088                  // 000000004220: DBFE3320 64000024
	v_mfma_f32_32x32x8_bf16 v[68:83], a[60:61], a[12:13], v[68:83]// 000000004228: D3E00044 1D12193C
	s_add_u32 m0, 0x440, m0                                    // 000000004230: 807C7CFF 00000440
	buffer_load_dword v19, s[12:15], s60 offen lds             // 000000004238: E0511000 3C030013
	v_mfma_f32_32x32x8_bf16 v[68:83], a[62:63], a[14:15], v[68:83]// 000000004240: D3E00044 1D121D3E
	ds_read_b128 a[104:107], v36 offset:13120                  // 000000004248: DBFE3340 68000024
	ds_read_b128 a[108:111], v36 offset:13152                  // 000000004250: DBFE3360 6C000024
	v_mfma_f32_32x32x8_bf16 v[68:83], a[64:65], a[16:17], v[68:83]// 000000004258: D3E00044 1D122140
	s_add_u32 m0, 0x440, m0                                    // 000000004260: 807C7CFF 00000440
	buffer_load_dword v20, s[12:15], s60 offen lds             // 000000004268: E0511000 3C030014
	v_mfma_f32_32x32x8_bf16 v[68:83], a[66:67], a[18:19], v[68:83]// 000000004270: D3E00044 1D122542
	ds_read_b128 a[112:115], v36 offset:17408                  // 000000004278: DBFE4400 70000024
	ds_read_b128 a[116:119], v36 offset:17440                  // 000000004280: DBFE4420 74000024
	v_mfma_f32_32x32x8_bf16 v[68:83], a[68:69], a[20:21], v[68:83]// 000000004288: D3E00044 1D122944
	s_add_u32 m0, 0x440, m0                                    // 000000004290: 807C7CFF 00000440
	buffer_load_dword v21, s[12:15], s60 offen lds             // 000000004298: E0511000 3C030015
	v_mfma_f32_32x32x8_bf16 v[68:83], a[70:71], a[22:23], v[68:83]// 0000000042A0: D3E00044 1D122D46
	ds_read_b128 a[120:123], v36 offset:17472                  // 0000000042A8: DBFE4440 78000024
	ds_read_b128 a[124:127], v36 offset:17504                  // 0000000042B0: DBFE4460 7C000024
	v_mfma_f32_32x32x8_bf16 v[68:83], a[72:73], a[24:25], v[68:83]// 0000000042B8: D3E00044 1D123148
	s_add_u32 m0, 0x440, m0                                    // 0000000042C0: 807C7CFF 00000440
	buffer_load_dword v22, s[12:15], s60 offen lds             // 0000000042C8: E0511000 3C030016
	v_mfma_f32_32x32x8_bf16 v[68:83], a[74:75], a[26:27], v[68:83]// 0000000042D0: D3E00044 1D12354A
	ds_read_b128 a[128:131], v36 offset:21760                  // 0000000042D8: DBFE5500 80000024
	ds_read_b128 a[132:135], v36 offset:21792                  // 0000000042E0: DBFE5520 84000024
	v_mfma_f32_32x32x8_bf16 v[68:83], a[76:77], a[28:29], v[68:83]// 0000000042E8: D3E00044 1D12394C
	s_add_u32 m0, 0x440, m0                                    // 0000000042F0: 807C7CFF 00000440
	buffer_load_dword v23, s[12:15], s60 offen lds             // 0000000042F8: E0511000 3C030017
	v_mfma_f32_32x32x8_bf16 v[68:83], a[78:79], a[30:31], v[68:83]// 000000004300: D3E00044 1D123D4E
	ds_read_b128 a[136:139], v36 offset:21824                  // 000000004308: DBFE5540 88000024
	ds_read_b128 a[140:143], v36 offset:21856                  // 000000004310: DBFE5560 8C000024
	v_mfma_f32_32x32x8_bf16 v[68:83], a[80:81], a[32:33], v[68:83]// 000000004318: D3E00044 1D124150
	s_add_u32 m0, 0x440, m0                                    // 000000004320: 807C7CFF 00000440
	buffer_load_dword v24, s[12:15], s60 offen lds             // 000000004328: E0511000 3C030018
	v_mfma_f32_32x32x8_bf16 v[68:83], a[82:83], a[34:35], v[68:83]// 000000004330: D3E00044 1D124552
	v_mfma_f32_32x32x8_bf16 v[68:83], a[84:85], a[36:37], v[68:83]// 000000004338: D3E00044 1D124954
	s_add_u32 m0, 0x440, m0                                    // 000000004340: 807C7CFF 00000440
	buffer_load_dword v25, s[12:15], s60 offen lds             // 000000004348: E0511000 3C030019
	v_mfma_f32_32x32x8_bf16 v[68:83], a[86:87], a[38:39], v[68:83]// 000000004350: D3E00044 1D124D56
	v_mfma_f32_32x32x8_bf16 v[68:83], a[88:89], a[40:41], v[68:83]// 000000004358: D3E00044 1D125158
	s_add_u32 m0, 0x440, m0                                    // 000000004360: 807C7CFF 00000440
	buffer_load_dword v26, s[12:15], s60 offen lds             // 000000004368: E0511000 3C03001A
	v_mfma_f32_32x32x8_bf16 v[68:83], a[90:91], a[42:43], v[68:83]// 000000004370: D3E00044 1D12555A
	v_mfma_f32_32x32x8_bf16 v[68:83], a[92:93], a[44:45], v[68:83]// 000000004378: D3E00044 1D12595C
	s_add_u32 m0, 0x440, m0                                    // 000000004380: 807C7CFF 00000440
	buffer_load_dword v27, s[12:15], s60 offen lds             // 000000004388: E0511000 3C03001B
	v_mfma_f32_32x32x8_bf16 v[68:83], a[94:95], a[46:47], v[68:83]// 000000004390: D3E00044 1D125D5E
	s_add_i32 s60, s43, s60                                    // 000000004398: 813C3C2B
	s_waitcnt vmcnt(12) lgkmcnt(0)                             // 00000000439C: BF8C007C
	s_barrier                                                  // 0000000043A0: BF8A0000
	v_perm_b32 v188, v173, v172, s50                           // 0000000043A4: D1ED00BC 00CB59AD
	v_perm_b32 v192, v173, v172, s49                           // 0000000043AC: D1ED00C0 00C759AD
	v_perm_b32 v189, v175, v174, s50                           // 0000000043B4: D1ED00BD 00CB5DAF
	v_perm_b32 v193, v175, v174, s49                           // 0000000043BC: D1ED00C1 00C75DAF
	v_perm_b32 v190, v177, v176, s50                           // 0000000043C4: D1ED00BE 00CB61B1
	v_perm_b32 v194, v177, v176, s49                           // 0000000043CC: D1ED00C2 00C761B1
	v_perm_b32 v191, v179, v178, s50                           // 0000000043D4: D1ED00BF 00CB65B3
	v_perm_b32 v195, v179, v178, s49                           // 0000000043DC: D1ED00C3 00C765B3
	buffer_load_dword v164, v28, s[16:19], s35 offen           // 0000000043E4: E0501000 2304A41C
	buffer_load_dword v165, v29, s[16:19], s35 offen           // 0000000043EC: E0501000 2304A51D
	buffer_load_dword v166, v30, s[16:19], s35 offen           // 0000000043F4: E0501000 2304A61E
	buffer_load_dword v167, v31, s[16:19], s35 offen           // 0000000043FC: E0501000 2304A71F
	buffer_load_dword v168, v32, s[16:19], s35 offen           // 000000004404: E0501000 2304A820
	buffer_load_dword v169, v33, s[16:19], s35 offen           // 00000000440C: E0501000 2304A921
	buffer_load_dword v170, v34, s[16:19], s35 offen           // 000000004414: E0501000 2304AA22
	buffer_load_dword v171, v35, s[16:19], s35 offen           // 00000000441C: E0501000 2304AB23
	s_add_i32 s35, s44, s35                                    // 000000004424: 8123232C
	ds_read_b128 a[144:147], v37 offset:26112                  // 000000004428: DBFE6600 90000025
	ds_read_b128 a[148:151], v37 offset:28160                  // 000000004430: DBFE6E00 94000025
	ds_read_b128 a[152:155], v37 offset:26368                  // 000000004438: DBFE6700 98000025
	ds_read_b128 a[156:159], v37 offset:28416                  // 000000004440: DBFE6F00 9C000025
	ds_read_b128 a[160:163], v37 offset:26624                  // 000000004448: DBFE6800 A0000025
	ds_read_b128 a[164:167], v37 offset:28672                  // 000000004450: DBFE7000 A4000025
	ds_read_b128 a[168:171], v37 offset:26880                  // 000000004458: DBFE6900 A8000025
	ds_read_b128 a[172:175], v37 offset:28928                  // 000000004460: DBFE7100 AC000025
	s_nop 0                                                    // 000000004468: BF800000
	s_cmp_lt_i32 s52, s51                                      // 00000000446C: BF043334
	s_cbranch_scc1 label_04EA                                  // 000000004470: BF85008D
	s_nop 0                                                    // 000000004474: BF800000
	s_sub_i32 s40, s51, s52                                    // 000000004478: 81A83433
	s_sub_i32 s41, s7, s30                                     // 00000000447C: 81A91E07
	s_and_b32 s41, s41, 31                                     // 000000004480: 86299F29
	s_add_i32 s40, s40, s41                                    // 000000004484: 81282928
	v_add_i32 v40, v53, s40                                    // 000000004488: D29C0028 00005135
	v_cmp_lt_i32_e64 s[72:73], v40, 0                          // 000000004490: D0C10048 00010128
	v_cmp_lt_i32_e64 s[74:75], v40, 1                          // 000000004498: D0C1004A 00010328
	v_cndmask_b32_e64 v68, v68, v55, s[72:73]                  // 0000000044A0: D1000044 01226F44
	v_cndmask_b32_e64 v69, v69, v55, s[74:75]                  // 0000000044A8: D1000045 012A6F45
	v_cmp_lt_i32_e64 s[72:73], v40, 2                          // 0000000044B0: D0C10048 00010528
	v_cmp_lt_i32_e64 s[74:75], v40, 3                          // 0000000044B8: D0C1004A 00010728
	v_cndmask_b32_e64 v70, v70, v55, s[72:73]                  // 0000000044C0: D1000046 01226F46
	v_cndmask_b32_e64 v71, v71, v55, s[74:75]                  // 0000000044C8: D1000047 012A6F47
	v_cmp_lt_i32_e64 s[72:73], v40, 8                          // 0000000044D0: D0C10048 00011128
	v_cmp_lt_i32_e64 s[74:75], v40, 9                          // 0000000044D8: D0C1004A 00011328
	v_cndmask_b32_e64 v72, v72, v55, s[72:73]                  // 0000000044E0: D1000048 01226F48
	v_cndmask_b32_e64 v73, v73, v55, s[74:75]                  // 0000000044E8: D1000049 012A6F49
	v_cmp_lt_i32_e64 s[72:73], v40, 10                         // 0000000044F0: D0C10048 00011528
	v_cmp_lt_i32_e64 s[74:75], v40, 11                         // 0000000044F8: D0C1004A 00011728
	v_cndmask_b32_e64 v74, v74, v55, s[72:73]                  // 000000004500: D100004A 01226F4A
	v_cndmask_b32_e64 v75, v75, v55, s[74:75]                  // 000000004508: D100004B 012A6F4B
	v_cmp_lt_i32_e64 s[72:73], v40, 16                         // 000000004510: D0C10048 00012128
	v_cmp_lt_i32_e64 s[74:75], v40, 17                         // 000000004518: D0C1004A 00012328
	v_cndmask_b32_e64 v76, v76, v55, s[72:73]                  // 000000004520: D100004C 01226F4C
	v_cndmask_b32_e64 v77, v77, v55, s[74:75]                  // 000000004528: D100004D 012A6F4D
	v_cmp_lt_i32_e64 s[72:73], v40, 18                         // 000000004530: D0C10048 00012528
	v_cmp_lt_i32_e64 s[74:75], v40, 19                         // 000000004538: D0C1004A 00012728
	v_cndmask_b32_e64 v78, v78, v55, s[72:73]                  // 000000004540: D100004E 01226F4E
	v_cndmask_b32_e64 v79, v79, v55, s[74:75]                  // 000000004548: D100004F 012A6F4F
	v_cmp_lt_i32_e64 s[72:73], v40, 24                         // 000000004550: D0C10048 00013128
	v_cmp_lt_i32_e64 s[74:75], v40, 25                         // 000000004558: D0C1004A 00013328
	v_cndmask_b32_e64 v80, v80, v55, s[72:73]                  // 000000004560: D1000050 01226F50
	v_cndmask_b32_e64 v81, v81, v55, s[74:75]                  // 000000004568: D1000051 012A6F51
	v_cmp_lt_i32_e64 s[72:73], v40, 26                         // 000000004570: D0C10048 00013528
	v_cmp_lt_i32_e64 s[74:75], v40, 27                         // 000000004578: D0C1004A 00013728
	v_cndmask_b32_e64 v82, v82, v55, s[72:73]                  // 000000004580: D1000052 01226F52
	v_cndmask_b32_e64 v83, v83, v55, s[74:75]                  // 000000004588: D1000053 012A6F53
	s_nop 0                                                    // 000000004590: BF800000
	s_cmp_lt_i32 s52, s54                                      // 000000004594: BF043634
	s_cbranch_scc1 label_04EA                                  // 000000004598: BF850043
	s_sub_i32 s40, s7, s52                                     // 00000000459C: 81A83407
	v_sub_i32 v40, s40, v54                                    // 0000000045A0: D29D0028 00026C28
	v_cmp_lt_i32_e64 s[72:73], 0, v40                          // 0000000045A8: D0C10048 00025080
	v_cmp_lt_i32_e64 s[74:75], 1, v40                          // 0000000045B0: D0C1004A 00025081
	v_cndmask_b32_e64 v68, v55, v68, s[72:73]                  // 0000000045B8: D1000044 01228937
	v_cndmask_b32_e64 v69, v55, v69, s[74:75]                  // 0000000045C0: D1000045 012A8B37
	v_cmp_lt_i32_e64 s[72:73], 2, v40                          // 0000000045C8: D0C10048 00025082
	v_cmp_lt_i32_e64 s[74:75], 3, v40                          // 0000000045D0: D0C1004A 00025083
	v_cndmask_b32_e64 v70, v55, v70, s[72:73]                  // 0000000045D8: D1000046 01228D37
	v_cndmask_b32_e64 v71, v55, v71, s[74:75]                  // 0000000045E0: D1000047 012A8F37
	v_cmp_lt_i32_e64 s[72:73], 8, v40                          // 0000000045E8: D0C10048 00025088
	v_cmp_lt_i32_e64 s[74:75], 9, v40                          // 0000000045F0: D0C1004A 00025089
	v_cndmask_b32_e64 v72, v55, v72, s[72:73]                  // 0000000045F8: D1000048 01229137
	v_cndmask_b32_e64 v73, v55, v73, s[74:75]                  // 000000004600: D1000049 012A9337
	v_cmp_lt_i32_e64 s[72:73], 10, v40                         // 000000004608: D0C10048 0002508A
	v_cmp_lt_i32_e64 s[74:75], 11, v40                         // 000000004610: D0C1004A 0002508B
	v_cndmask_b32_e64 v74, v55, v74, s[72:73]                  // 000000004618: D100004A 01229537
	v_cndmask_b32_e64 v75, v55, v75, s[74:75]                  // 000000004620: D100004B 012A9737
	v_cmp_lt_i32_e64 s[72:73], 16, v40                         // 000000004628: D0C10048 00025090
	v_cmp_lt_i32_e64 s[74:75], 17, v40                         // 000000004630: D0C1004A 00025091
	v_cndmask_b32_e64 v76, v55, v76, s[72:73]                  // 000000004638: D100004C 01229937
	v_cndmask_b32_e64 v77, v55, v77, s[74:75]                  // 000000004640: D100004D 012A9B37
	v_cmp_lt_i32_e64 s[72:73], 18, v40                         // 000000004648: D0C10048 00025092
	v_cmp_lt_i32_e64 s[74:75], 19, v40                         // 000000004650: D0C1004A 00025093
	v_cndmask_b32_e64 v78, v55, v78, s[72:73]                  // 000000004658: D100004E 01229D37
	v_cndmask_b32_e64 v79, v55, v79, s[74:75]                  // 000000004660: D100004F 012A9F37
	v_cmp_lt_i32_e64 s[72:73], 24, v40                         // 000000004668: D0C10048 00025098
	v_cmp_lt_i32_e64 s[74:75], 25, v40                         // 000000004670: D0C1004A 00025099
	v_cndmask_b32_e64 v80, v55, v80, s[72:73]                  // 000000004678: D1000050 0122A137
	v_cndmask_b32_e64 v81, v55, v81, s[74:75]                  // 000000004680: D1000051 012AA337
	v_cmp_lt_i32_e64 s[72:73], 26, v40                         // 000000004688: D0C10048 0002509A
	v_cmp_lt_i32_e64 s[74:75], 27, v40                         // 000000004690: D0C1004A 0002509B
	v_cndmask_b32_e64 v82, v55, v82, s[72:73]                  // 000000004698: D1000052 0122A537
	v_cndmask_b32_e64 v83, v55, v83, s[74:75]                  // 0000000046A0: D1000053 012AA737

00000000000046a8 <label_04EA>:
	v_max3_f32 v49, v68, v69, v52                              // 0000000046A8: D1D30031 04D28B44
	v_max3_f32 v49, v70, v71, v49                              // 0000000046B0: D1D30031 04C68F46
	v_max3_f32 v49, v72, v73, v49                              // 0000000046B8: D1D30031 04C69348
	v_max3_f32 v49, v74, v75, v49                              // 0000000046C0: D1D30031 04C6974A
	v_max3_f32 v49, v76, v77, v49                              // 0000000046C8: D1D30031 04C69B4C
	v_max3_f32 v49, v78, v79, v49                              // 0000000046D0: D1D30031 04C69F4E
	v_max3_f32 v49, v80, v81, v49                              // 0000000046D8: D1D30031 04C6A350
	v_max3_f32 v49, v82, v83, v49                              // 0000000046E0: D1D30031 04C6A752
	ds_permute_b32 v48, v56, v49                               // 0000000046E8: D87C0000 30003138
	v_nop                                                      // 0000000046F0: 7E000000
	s_nop 0                                                    // 0000000046F4: BF800000
	v_nop                                                      // 0000000046F8: 7E000000
	s_waitcnt lgkmcnt(0)                                       // 0000000046FC: BF8CC07F
	v_max_f32_e32 v49, v48, v49                                // 000000004700: 16626330
	v_mov_b32_e32 v44, 0                                       // 000000004704: 7E580280
	v_mov_b32_e32 v52, v49                                     // 000000004708: 7E680331
	v_mul_f32_e32 v51, s56, v49                                // 00000000470C: 0A666238
	v_mul_f32_e32 v44, s56, v44                                // 000000004710: 0A585838
	v_exp_f32_e32 v44, v44                                     // 000000004714: 7E58412C
	v_fma_f32 v68, v68, s56, -v51                              // 000000004718: D1CB0044 84CC7144
	v_fma_f32 v69, v69, s56, -v51                              // 000000004720: D1CB0045 84CC7145
	v_fma_f32 v70, v70, s56, -v51                              // 000000004728: D1CB0046 84CC7146
	v_fma_f32 v71, v71, s56, -v51                              // 000000004730: D1CB0047 84CC7147
	v_fma_f32 v72, v72, s56, -v51                              // 000000004738: D1CB0048 84CC7148
	v_fma_f32 v73, v73, s56, -v51                              // 000000004740: D1CB0049 84CC7149
	v_fma_f32 v74, v74, s56, -v51                              // 000000004748: D1CB004A 84CC714A
	v_fma_f32 v75, v75, s56, -v51                              // 000000004750: D1CB004B 84CC714B
	v_fma_f32 v76, v76, s56, -v51                              // 000000004758: D1CB004C 84CC714C
	v_fma_f32 v77, v77, s56, -v51                              // 000000004760: D1CB004D 84CC714D
	v_fma_f32 v78, v78, s56, -v51                              // 000000004768: D1CB004E 84CC714E
	v_fma_f32 v79, v79, s56, -v51                              // 000000004770: D1CB004F 84CC714F
	v_fma_f32 v80, v80, s56, -v51                              // 000000004778: D1CB0050 84CC7150
	v_fma_f32 v81, v81, s56, -v51                              // 000000004780: D1CB0051 84CC7151
	v_fma_f32 v82, v82, s56, -v51                              // 000000004788: D1CB0052 84CC7152
	v_fma_f32 v83, v83, s56, -v51                              // 000000004790: D1CB0053 84CC7153
	v_exp_f32_e32 v68, v68                                     // 000000004798: 7E884144
	v_exp_f32_e32 v69, v69                                     // 00000000479C: 7E8A4145
	v_exp_f32_e32 v70, v70                                     // 0000000047A0: 7E8C4146
	v_exp_f32_e32 v71, v71                                     // 0000000047A4: 7E8E4147
	v_exp_f32_e32 v72, v72                                     // 0000000047A8: 7E904148
	v_exp_f32_e32 v73, v73                                     // 0000000047AC: 7E924149
	v_exp_f32_e32 v74, v74                                     // 0000000047B0: 7E94414A
	v_exp_f32_e32 v75, v75                                     // 0000000047B4: 7E96414B
	v_exp_f32_e32 v76, v76                                     // 0000000047B8: 7E98414C
	v_exp_f32_e32 v77, v77                                     // 0000000047BC: 7E9A414D
	v_exp_f32_e32 v78, v78                                     // 0000000047C0: 7E9C414E
	v_mov_b32_e32 v45, v44                                     // 0000000047C4: 7E5A032C
	v_mul_f32_e32 v128, v44, v128                              // 0000000047C8: 0B01012C
	v_mul_f32_e32 v129, v44, v129                              // 0000000047CC: 0B03032C
	v_pk_mul_f32 v[130:131], v[44:45], v[130:131]              // 0000000047D0: D3B14082 1803052C
	v_pk_mul_f32 v[132:133], v[44:45], v[132:133]              // 0000000047D8: D3B14084 1803092C
	v_pk_mul_f32 v[134:135], v[44:45], v[134:135]              // 0000000047E0: D3B14086 18030D2C
	v_pk_mul_f32 v[136:137], v[44:45], v[136:137]              // 0000000047E8: D3B14088 1803112C
	v_pk_mul_f32 v[138:139], v[44:45], v[138:139]              // 0000000047F0: D3B1408A 1803152C
	v_pk_mul_f32 v[140:141], v[44:45], v[140:141]              // 0000000047F8: D3B1408C 1803192C
	v_pk_mul_f32 v[142:143], v[44:45], v[142:143]              // 000000004800: D3B1408E 18031D2C
	v_pk_mul_f32 v[144:145], v[44:45], v[144:145]              // 000000004808: D3B14090 1803212C
	v_pk_mul_f32 v[146:147], v[44:45], v[146:147]              // 000000004810: D3B14092 1803252C
	v_pk_mul_f32 v[148:149], v[44:45], v[148:149]              // 000000004818: D3B14094 1803292C
	v_pk_mul_f32 v[150:151], v[44:45], v[150:151]              // 000000004820: D3B14096 18032D2C
	v_pk_mul_f32 v[152:153], v[44:45], v[152:153]              // 000000004828: D3B14098 1803312C
	v_pk_mul_f32 v[154:155], v[44:45], v[154:155]              // 000000004830: D3B1409A 1803352C
	v_pk_mul_f32 v[156:157], v[44:45], v[156:157]              // 000000004838: D3B1409C 1803392C
	v_pk_mul_f32 v[158:159], v[44:45], v[158:159]              // 000000004840: D3B1409E 18033D2C
	v_pk_mul_f32 v[160:161], v[44:45], v[160:161]              // 000000004848: D3B140A0 1803412C
	v_pk_mul_f32 v[162:163], v[44:45], v[162:163]              // 000000004850: D3B140A2 1803452C
	s_addk_i32 s39, 0x20                                       // 000000004858: B7270020
	s_add_i32 s52, s52, s53                                    // 00000000485C: 81343534
	s_cmp_lt_i32 s39, s38                                      // 000000004860: BF042627
	s_cbranch_scc0 label_0F28                                  // 000000004864: BF8409CE
	s_cmp_lt_i32 s5, 2                                         // 000000004868: BF048205
	s_cbranch_scc0 label_0A42                                  // 00000000486C: BF8404E6
	s_nop 0                                                    // 000000004870: BF800000

0000000000004874 <label_055D>:
	s_waitcnt vmcnt(8) lgkmcnt(8)                              // 000000004874: BF8C0878
	s_barrier                                                  // 000000004878: BF8A0000
	v_mfma_f32_32x32x8_bf16 v[84:99], a[96:97], a[0:1], 0      // 00000000487C: D3E00054 1A020160
	s_mov_b32 m0, s69                                          // 000000004884: BEFC0045
	buffer_load_dword v16, s[12:15], s60 offen lds             // 000000004888: E0511000 3C030010
	ds_write_b128 v38, v[188:191] offset:34432                 // 000000004890: D9BE8680 0000BC26
	v_mfma_f32_32x32x8_bf16 v[84:99], a[98:99], a[2:3], v[84:99]// 000000004898: D3E00054 1D520562
	v_exp_f32_e32 v79, v79                                     // 0000000048A0: 7E9E414F
	v_exp_f32_e32 v80, v80                                     // 0000000048A4: 7EA04150
	v_mfma_f32_32x32x8_bf16 v[84:99], a[100:101], a[4:5], v[84:99]// 0000000048A8: D3E00054 1D520964
	s_add_u32 m0, 0x440, m0                                    // 0000000048B0: 807C7CFF 00000440
	buffer_load_dword v17, s[12:15], s60 offen lds             // 0000000048B8: E0511000 3C030011
	ds_write_b128 v38, v[192:195] offset:38592                 // 0000000048C0: D9BE96C0 0000C026
	v_mfma_f32_32x32x8_bf16 v[84:99], a[102:103], a[6:7], v[84:99]// 0000000048C8: D3E00054 1D520D66
	v_exp_f32_e32 v81, v81                                     // 0000000048D0: 7EA24151
	v_exp_f32_e32 v82, v82                                     // 0000000048D4: 7EA44152
	v_mfma_f32_32x32x8_bf16 v[84:99], a[104:105], a[8:9], v[84:99]// 0000000048D8: D3E00054 1D521168
	s_add_u32 m0, 0x440, m0                                    // 0000000048E0: 807C7CFF 00000440
	buffer_load_dword v18, s[12:15], s60 offen lds             // 0000000048E8: E0511000 3C030012
	ds_read_b128 a[48:51], v36                                 // 0000000048F0: DBFE0000 30000024
	ds_read_b128 a[52:55], v36 offset:32                       // 0000000048F8: DBFE0020 34000024
	v_exp_f32_e32 v83, v83                                     // 000000004900: 7EA64153
	v_mfma_f32_32x32x8_bf16 v[84:99], a[106:107], a[10:11], v[84:99]// 000000004904: D3E00054 1D52156A
	v_mul_f32_e32 v46, v44, v46                                // 00000000490C: 0A5C5D2C
	v_add_f32_e32 v62, v69, v68                                // 000000004910: 027C8945
	v_add_f32_e32 v62, v70, v62                                // 000000004914: 027C7D46
	v_add_f32_e32 v62, v71, v62                                // 000000004918: 027C7D47
	v_add_f32_e32 v62, v72, v62                                // 00000000491C: 027C7D48
	v_add_f32_e32 v62, v73, v62                                // 000000004920: 027C7D49
	v_add_f32_e32 v62, v74, v62                                // 000000004924: 027C7D4A
	v_mfma_f32_32x32x8_bf16 v[84:99], a[108:109], a[12:13], v[84:99]// 000000004928: D3E00054 1D52196C
	s_add_u32 m0, 0x440, m0                                    // 000000004930: 807C7CFF 00000440
	buffer_load_dword v19, s[12:15], s60 offen lds             // 000000004938: E0511000 3C030013
	ds_read_b128 a[56:59], v36 offset:64                       // 000000004940: DBFE0040 38000024
	ds_read_b128 a[60:63], v36 offset:96                       // 000000004948: DBFE0060 3C000024
	v_add_f32_e32 v62, v75, v62                                // 000000004950: 027C7D4B
	v_add_f32_e32 v62, v76, v62                                // 000000004954: 027C7D4C
	v_mfma_f32_32x32x8_bf16 v[84:99], a[110:111], a[14:15], v[84:99]// 000000004958: D3E00054 1D521D6E
	v_add_f32_e32 v62, v77, v62                                // 000000004960: 027C7D4D
	v_add_f32_e32 v62, v78, v62                                // 000000004964: 027C7D4E
	v_add_f32_e32 v62, v79, v62                                // 000000004968: 027C7D4F
	v_add_f32_e32 v62, v80, v62                                // 00000000496C: 027C7D50
	v_add_f32_e32 v62, v81, v62                                // 000000004970: 027C7D51
	v_add_f32_e32 v62, v82, v62                                // 000000004974: 027C7D52
	v_add_f32_e32 v62, v83, v62                                // 000000004978: 027C7D53
	v_mfma_f32_32x32x8_bf16 v[84:99], a[112:113], a[16:17], v[84:99]// 00000000497C: D3E00054 1D522170
	s_add_u32 m0, 0x440, m0                                    // 000000004984: 807C7CFF 00000440
	buffer_load_dword v20, s[12:15], s60 offen lds             // 00000000498C: E0511000 3C030014
	ds_read_b128 a[64:67], v36 offset:4352                     // 000000004994: DBFE1100 40000024
	ds_read_b128 a[68:71], v36 offset:4384                     // 00000000499C: DBFE1120 44000024
	v_add_f32_e32 v46, v62, v46                                // 0000000049A4: 025C5D3E
	v_mul_f32_e32 v100, v44, v100                              // 0000000049A8: 0AC8C92C
	v_mfma_f32_32x32x8_bf16 v[84:99], a[114:115], a[18:19], v[84:99]// 0000000049AC: D3E00054 1D522572
	v_mul_f32_e32 v101, v44, v101                              // 0000000049B4: 0ACACB2C
	v_mul_f32_e32 v102, v44, v102                              // 0000000049B8: 0ACCCD2C
	v_mul_f32_e32 v103, v44, v103                              // 0000000049BC: 0ACECF2C
	v_mul_f32_e32 v104, v44, v104                              // 0000000049C0: 0AD0D12C
	v_mul_f32_e32 v105, v44, v105                              // 0000000049C4: 0AD2D32C
	v_mul_f32_e32 v106, v44, v106                              // 0000000049C8: 0AD4D52C
	v_mul_f32_e32 v107, v44, v107                              // 0000000049CC: 0AD6D72C
	v_mfma_f32_32x32x8_bf16 v[84:99], a[116:117], a[20:21], v[84:99]// 0000000049D0: D3E00054 1D522974
	s_add_u32 m0, 0x440, m0                                    // 0000000049D8: 807C7CFF 00000440
	buffer_load_dword v21, s[12:15], s60 offen lds             // 0000000049E0: E0511000 3C030015
	ds_read_b128 a[72:75], v36 offset:4416                     // 0000000049E8: DBFE1140 48000024
	ds_read_b128 a[76:79], v36 offset:4448                     // 0000000049F0: DBFE1160 4C000024
	v_mul_f32_e32 v108, v44, v108                              // 0000000049F8: 0AD8D92C
	v_mul_f32_e32 v109, v44, v109                              // 0000000049FC: 0ADADB2C
	v_mfma_f32_32x32x8_bf16 v[84:99], a[118:119], a[22:23], v[84:99]// 000000004A00: D3E00054 1D522D76
	v_mul_f32_e32 v110, v44, v110                              // 000000004A08: 0ADCDD2C
	v_mul_f32_e32 v111, v44, v111                              // 000000004A0C: 0ADEDF2C
	v_mul_f32_e32 v112, v44, v112                              // 000000004A10: 0AE0E12C
	v_mul_f32_e32 v113, v44, v113                              // 000000004A14: 0AE2E32C
	v_mul_f32_e32 v114, v44, v114                              // 000000004A18: 0AE4E52C
	v_mul_f32_e32 v115, v44, v115                              // 000000004A1C: 0AE6E72C
	v_mul_f32_e32 v116, v44, v116                              // 000000004A20: 0AE8E92C
	v_mfma_f32_32x32x8_bf16 v[84:99], a[120:121], a[24:25], v[84:99]// 000000004A24: D3E00054 1D523178
	s_add_u32 m0, 0x440, m0                                    // 000000004A2C: 807C7CFF 00000440
	buffer_load_dword v22, s[12:15], s60 offen lds             // 000000004A34: E0511000 3C030016
	ds_read_b128 a[80:83], v36 offset:8704                     // 000000004A3C: DBFE2200 50000024
	ds_read_b128 a[84:87], v36 offset:8736                     // 000000004A44: DBFE2220 54000024
	v_mul_f32_e32 v117, v44, v117                              // 000000004A4C: 0AEAEB2C
	v_mul_f32_e32 v118, v44, v118                              // 000000004A50: 0AECED2C
	v_mfma_f32_32x32x8_bf16 v[84:99], a[122:123], a[26:27], v[84:99]// 000000004A54: D3E00054 1D52357A
	v_mul_f32_e32 v119, v44, v119                              // 000000004A5C: 0AEEEF2C
	v_mul_f32_e32 v120, v44, v120                              // 000000004A60: 0AF0F12C
	v_mul_f32_e32 v121, v44, v121                              // 000000004A64: 0AF2F32C
	v_mul_f32_e32 v122, v44, v122                              // 000000004A68: 0AF4F52C
	v_mul_f32_e32 v123, v44, v123                              // 000000004A6C: 0AF6F72C
	v_mul_f32_e32 v124, v44, v124                              // 000000004A70: 0AF8F92C
	v_mul_f32_e32 v125, v44, v125                              // 000000004A74: 0AFAFB2C
	v_mfma_f32_32x32x8_bf16 v[84:99], a[124:125], a[28:29], v[84:99]// 000000004A78: D3E00054 1D52397C
	s_add_u32 m0, 0x440, m0                                    // 000000004A80: 807C7CFF 00000440
	buffer_load_dword v23, s[12:15], s60 offen lds             // 000000004A88: E0511000 3C030017
	ds_read_b128 a[88:91], v36 offset:8768                     // 000000004A90: DBFE2240 58000024
	ds_read_b128 a[92:95], v36 offset:8800                     // 000000004A98: DBFE2260 5C000024
	v_mul_f32_e32 v126, v44, v126                              // 000000004AA0: 0AFCFD2C
	v_mul_f32_e32 v127, v44, v127                              // 000000004AA4: 0AFEFF2C
	v_mfma_f32_32x32x8_bf16 v[84:99], a[126:127], a[30:31], v[84:99]// 000000004AA8: D3E00054 1D523D7E
	v_cmp_u_f32_e64 s[70:71], v68, v68                         // 000000004AB0: D0480046 00028944
	v_add3_u32 v64, v68, v67, 1                                // 000000004AB8: D1FF0040 02068744
	v_cndmask_b32_e64 v40, v64, v66, s[70:71]                  // 000000004AC0: D1000028 011A8540
	v_cmp_u_f32_e64 s[70:71], v69, v69                         // 000000004AC8: D0480046 00028B45
	v_add3_u32 v64, v69, v67, 1                                // 000000004AD0: D1FF0040 02068745
	v_cndmask_b32_e64 v41, v64, v66, s[70:71]                  // 000000004AD8: D1000029 011A8540
	v_perm_b32 v68, v41, v40, s49                              // 000000004AE0: D1ED0044 00C65129
	v_mfma_f32_32x32x8_bf16 v[84:99], a[128:129], a[32:33], v[84:99]// 000000004AE8: D3E00054 1D524180
	s_add_u32 m0, 0x440, m0                                    // 000000004AF0: 807C7CFF 00000440
	buffer_load_dword v24, s[12:15], s60 offen lds             // 000000004AF8: E0511000 3C030018
	v_cmp_u_f32_e64 s[70:71], v70, v70                         // 000000004B00: D0480046 00028D46
	v_add3_u32 v64, v70, v67, 1                                // 000000004B08: D1FF0040 02068746
	v_cndmask_b32_e64 v40, v64, v66, s[70:71]                  // 000000004B10: D1000028 011A8540
	v_cmp_u_f32_e64 s[70:71], v71, v71                         // 000000004B18: D0480046 00028F47
	v_add3_u32 v64, v71, v67, 1                                // 000000004B20: D1FF0040 02068747
	v_cndmask_b32_e64 v41, v64, v66, s[70:71]                  // 000000004B28: D1000029 011A8540
	v_perm_b32 v69, v41, v40, s49                              // 000000004B30: D1ED0045 00C65129
	v_mfma_f32_32x32x8_bf16 v[84:99], a[130:131], a[34:35], v[84:99]// 000000004B38: D3E00054 1D524582
	v_cmp_u_f32_e64 s[70:71], v72, v72                         // 000000004B40: D0480046 00029148
	v_add3_u32 v64, v72, v67, 1                                // 000000004B48: D1FF0040 02068748
	v_cndmask_b32_e64 v40, v64, v66, s[70:71]                  // 000000004B50: D1000028 011A8540
	v_cmp_u_f32_e64 s[70:71], v73, v73                         // 000000004B58: D0480046 00029349
	v_add3_u32 v64, v73, v67, 1                                // 000000004B60: D1FF0040 02068749
	v_cndmask_b32_e64 v41, v64, v66, s[70:71]                  // 000000004B68: D1000029 011A8540
	v_perm_b32 v70, v41, v40, s49                              // 000000004B70: D1ED0046 00C65129
	v_mfma_f32_32x32x8_bf16 v[84:99], a[132:133], a[36:37], v[84:99]// 000000004B78: D3E00054 1D524984
	s_add_u32 m0, 0x440, m0                                    // 000000004B80: 807C7CFF 00000440
	buffer_load_dword v25, s[12:15], s60 offen lds             // 000000004B88: E0511000 3C030019
	v_cmp_u_f32_e64 s[70:71], v74, v74                         // 000000004B90: D0480046 0002954A
	v_add3_u32 v64, v74, v67, 1                                // 000000004B98: D1FF0040 0206874A
	v_cndmask_b32_e64 v40, v64, v66, s[70:71]                  // 000000004BA0: D1000028 011A8540
	v_cmp_u_f32_e64 s[70:71], v75, v75                         // 000000004BA8: D0480046 0002974B
	v_add3_u32 v64, v75, v67, 1                                // 000000004BB0: D1FF0040 0206874B
	v_cndmask_b32_e64 v41, v64, v66, s[70:71]                  // 000000004BB8: D1000029 011A8540
	v_perm_b32 v71, v41, v40, s49                              // 000000004BC0: D1ED0047 00C65129
	v_mfma_f32_32x32x8_bf16 v[84:99], a[134:135], a[38:39], v[84:99]// 000000004BC8: D3E00054 1D524D86
	v_cmp_u_f32_e64 s[70:71], v76, v76                         // 000000004BD0: D0480046 0002994C
	v_add3_u32 v64, v76, v67, 1                                // 000000004BD8: D1FF0040 0206874C
	v_cndmask_b32_e64 v40, v64, v66, s[70:71]                  // 000000004BE0: D1000028 011A8540
	v_cmp_u_f32_e64 s[70:71], v77, v77                         // 000000004BE8: D0480046 00029B4D
	v_add3_u32 v64, v77, v67, 1                                // 000000004BF0: D1FF0040 0206874D
	v_cndmask_b32_e64 v41, v64, v66, s[70:71]                  // 000000004BF8: D1000029 011A8540
	v_perm_b32 v72, v41, v40, s49                              // 000000004C00: D1ED0048 00C65129
	v_mfma_f32_32x32x8_bf16 v[84:99], a[136:137], a[40:41], v[84:99]// 000000004C08: D3E00054 1D525188
	s_add_u32 m0, 0x440, m0                                    // 000000004C10: 807C7CFF 00000440
	buffer_load_dword v26, s[12:15], s60 offen lds             // 000000004C18: E0511000 3C03001A
	v_cmp_u_f32_e64 s[70:71], v78, v78                         // 000000004C20: D0480046 00029D4E
	v_add3_u32 v64, v78, v67, 1                                // 000000004C28: D1FF0040 0206874E
	v_cndmask_b32_e64 v40, v64, v66, s[70:71]                  // 000000004C30: D1000028 011A8540
	v_cmp_u_f32_e64 s[70:71], v79, v79                         // 000000004C38: D0480046 00029F4F
	v_add3_u32 v64, v79, v67, 1                                // 000000004C40: D1FF0040 0206874F
	v_cndmask_b32_e64 v41, v64, v66, s[70:71]                  // 000000004C48: D1000029 011A8540
	v_perm_b32 v73, v41, v40, s49                              // 000000004C50: D1ED0049 00C65129
	v_mfma_f32_32x32x8_bf16 v[84:99], a[138:139], a[42:43], v[84:99]// 000000004C58: D3E00054 1D52558A
	v_cmp_u_f32_e64 s[70:71], v80, v80                         // 000000004C60: D0480046 0002A150
	v_add3_u32 v64, v80, v67, 1                                // 000000004C68: D1FF0040 02068750
	v_cndmask_b32_e64 v40, v64, v66, s[70:71]                  // 000000004C70: D1000028 011A8540
	v_cmp_u_f32_e64 s[70:71], v81, v81                         // 000000004C78: D0480046 0002A351
	v_add3_u32 v64, v81, v67, 1                                // 000000004C80: D1FF0040 02068751
	v_cndmask_b32_e64 v41, v64, v66, s[70:71]                  // 000000004C88: D1000029 011A8540
	v_perm_b32 v74, v41, v40, s49                              // 000000004C90: D1ED004A 00C65129
	v_mfma_f32_32x32x8_bf16 v[84:99], a[140:141], a[44:45], v[84:99]// 000000004C98: D3E00054 1D52598C
	s_add_u32 m0, 0x440, m0                                    // 000000004CA0: 807C7CFF 00000440
	buffer_load_dword v27, s[12:15], s60 offen lds             // 000000004CA8: E0511000 3C03001B
	v_cmp_u_f32_e64 s[70:71], v82, v82                         // 000000004CB0: D0480046 0002A552
	v_add3_u32 v64, v82, v67, 1                                // 000000004CB8: D1FF0040 02068752
	v_cndmask_b32_e64 v40, v64, v66, s[70:71]                  // 000000004CC0: D1000028 011A8540
	v_cmp_u_f32_e64 s[70:71], v83, v83                         // 000000004CC8: D0480046 0002A753
	v_add3_u32 v64, v83, v67, 1                                // 000000004CD0: D1FF0040 02068753
	v_cndmask_b32_e64 v41, v64, v66, s[70:71]                  // 000000004CD8: D1000029 011A8540
	v_perm_b32 v75, v41, v40, s49                              // 000000004CE0: D1ED004B 00C65129
	v_mfma_f32_32x32x8_bf16 v[84:99], a[142:143], a[46:47], v[84:99]// 000000004CE8: D3E00054 1D525D8E
	s_add_i32 s60, s43, s60                                    // 000000004CF0: 813C3C2B
	s_cmp_lt_i32 s52, s51                                      // 000000004CF4: BF043334
	s_cbranch_scc1 label_070C                                  // 000000004CF8: BF85008D
	s_nop 0                                                    // 000000004CFC: BF800000
	s_sub_i32 s40, s51, s52                                    // 000000004D00: 81A83433
	s_sub_i32 s41, s7, s30                                     // 000000004D04: 81A91E07
	s_and_b32 s41, s41, 31                                     // 000000004D08: 86299F29
	s_add_i32 s40, s40, s41                                    // 000000004D0C: 81282928
	v_add_i32 v40, v53, s40                                    // 000000004D10: D29C0028 00005135
	v_cmp_lt_i32_e64 s[72:73], v40, 0                          // 000000004D18: D0C10048 00010128
	v_cmp_lt_i32_e64 s[74:75], v40, 1                          // 000000004D20: D0C1004A 00010328
	v_cndmask_b32_e64 v84, v84, v55, s[72:73]                  // 000000004D28: D1000054 01226F54
	v_cndmask_b32_e64 v85, v85, v55, s[74:75]                  // 000000004D30: D1000055 012A6F55
	v_cmp_lt_i32_e64 s[72:73], v40, 2                          // 000000004D38: D0C10048 00010528
	v_cmp_lt_i32_e64 s[74:75], v40, 3                          // 000000004D40: D0C1004A 00010728
	v_cndmask_b32_e64 v86, v86, v55, s[72:73]                  // 000000004D48: D1000056 01226F56
	v_cndmask_b32_e64 v87, v87, v55, s[74:75]                  // 000000004D50: D1000057 012A6F57
	v_cmp_lt_i32_e64 s[72:73], v40, 8                          // 000000004D58: D0C10048 00011128
	v_cmp_lt_i32_e64 s[74:75], v40, 9                          // 000000004D60: D0C1004A 00011328
	v_cndmask_b32_e64 v88, v88, v55, s[72:73]                  // 000000004D68: D1000058 01226F58
	v_cndmask_b32_e64 v89, v89, v55, s[74:75]                  // 000000004D70: D1000059 012A6F59
	v_cmp_lt_i32_e64 s[72:73], v40, 10                         // 000000004D78: D0C10048 00011528
	v_cmp_lt_i32_e64 s[74:75], v40, 11                         // 000000004D80: D0C1004A 00011728
	v_cndmask_b32_e64 v90, v90, v55, s[72:73]                  // 000000004D88: D100005A 01226F5A
	v_cndmask_b32_e64 v91, v91, v55, s[74:75]                  // 000000004D90: D100005B 012A6F5B
	v_cmp_lt_i32_e64 s[72:73], v40, 16                         // 000000004D98: D0C10048 00012128
	v_cmp_lt_i32_e64 s[74:75], v40, 17                         // 000000004DA0: D0C1004A 00012328
	v_cndmask_b32_e64 v92, v92, v55, s[72:73]                  // 000000004DA8: D100005C 01226F5C
	v_cndmask_b32_e64 v93, v93, v55, s[74:75]                  // 000000004DB0: D100005D 012A6F5D
	v_cmp_lt_i32_e64 s[72:73], v40, 18                         // 000000004DB8: D0C10048 00012528
	v_cmp_lt_i32_e64 s[74:75], v40, 19                         // 000000004DC0: D0C1004A 00012728
	v_cndmask_b32_e64 v94, v94, v55, s[72:73]                  // 000000004DC8: D100005E 01226F5E
	v_cndmask_b32_e64 v95, v95, v55, s[74:75]                  // 000000004DD0: D100005F 012A6F5F
	v_cmp_lt_i32_e64 s[72:73], v40, 24                         // 000000004DD8: D0C10048 00013128
	v_cmp_lt_i32_e64 s[74:75], v40, 25                         // 000000004DE0: D0C1004A 00013328
	v_cndmask_b32_e64 v96, v96, v55, s[72:73]                  // 000000004DE8: D1000060 01226F60
	v_cndmask_b32_e64 v97, v97, v55, s[74:75]                  // 000000004DF0: D1000061 012A6F61
	v_cmp_lt_i32_e64 s[72:73], v40, 26                         // 000000004DF8: D0C10048 00013528
	v_cmp_lt_i32_e64 s[74:75], v40, 27                         // 000000004E00: D0C1004A 00013728
	v_cndmask_b32_e64 v98, v98, v55, s[72:73]                  // 000000004E08: D1000062 01226F62
	v_cndmask_b32_e64 v99, v99, v55, s[74:75]                  // 000000004E10: D1000063 012A6F63
	s_nop 0                                                    // 000000004E18: BF800000
	s_cmp_lt_i32 s52, s54                                      // 000000004E1C: BF043634
	s_cbranch_scc1 label_070C                                  // 000000004E20: BF850043
	s_sub_i32 s40, s7, s52                                     // 000000004E24: 81A83407
	v_sub_i32 v40, s40, v54                                    // 000000004E28: D29D0028 00026C28
	v_cmp_lt_i32_e64 s[72:73], 0, v40                          // 000000004E30: D0C10048 00025080
	v_cmp_lt_i32_e64 s[74:75], 1, v40                          // 000000004E38: D0C1004A 00025081
	v_cndmask_b32_e64 v84, v55, v84, s[72:73]                  // 000000004E40: D1000054 0122A937
	v_cndmask_b32_e64 v85, v55, v85, s[74:75]                  // 000000004E48: D1000055 012AAB37
	v_cmp_lt_i32_e64 s[72:73], 2, v40                          // 000000004E50: D0C10048 00025082
	v_cmp_lt_i32_e64 s[74:75], 3, v40                          // 000000004E58: D0C1004A 00025083
	v_cndmask_b32_e64 v86, v55, v86, s[72:73]                  // 000000004E60: D1000056 0122AD37
	v_cndmask_b32_e64 v87, v55, v87, s[74:75]                  // 000000004E68: D1000057 012AAF37
	v_cmp_lt_i32_e64 s[72:73], 8, v40                          // 000000004E70: D0C10048 00025088
	v_cmp_lt_i32_e64 s[74:75], 9, v40                          // 000000004E78: D0C1004A 00025089
	v_cndmask_b32_e64 v88, v55, v88, s[72:73]                  // 000000004E80: D1000058 0122B137
	v_cndmask_b32_e64 v89, v55, v89, s[74:75]                  // 000000004E88: D1000059 012AB337
	v_cmp_lt_i32_e64 s[72:73], 10, v40                         // 000000004E90: D0C10048 0002508A
	v_cmp_lt_i32_e64 s[74:75], 11, v40                         // 000000004E98: D0C1004A 0002508B
	v_cndmask_b32_e64 v90, v55, v90, s[72:73]                  // 000000004EA0: D100005A 0122B537
	v_cndmask_b32_e64 v91, v55, v91, s[74:75]                  // 000000004EA8: D100005B 012AB737
	v_cmp_lt_i32_e64 s[72:73], 16, v40                         // 000000004EB0: D0C10048 00025090
	v_cmp_lt_i32_e64 s[74:75], 17, v40                         // 000000004EB8: D0C1004A 00025091
	v_cndmask_b32_e64 v92, v55, v92, s[72:73]                  // 000000004EC0: D100005C 0122B937
	v_cndmask_b32_e64 v93, v55, v93, s[74:75]                  // 000000004EC8: D100005D 012ABB37
	v_cmp_lt_i32_e64 s[72:73], 18, v40                         // 000000004ED0: D0C10048 00025092
	v_cmp_lt_i32_e64 s[74:75], 19, v40                         // 000000004ED8: D0C1004A 00025093
	v_cndmask_b32_e64 v94, v55, v94, s[72:73]                  // 000000004EE0: D100005E 0122BD37
	v_cndmask_b32_e64 v95, v55, v95, s[74:75]                  // 000000004EE8: D100005F 012ABF37
	v_cmp_lt_i32_e64 s[72:73], 24, v40                         // 000000004EF0: D0C10048 00025098
	v_cmp_lt_i32_e64 s[74:75], 25, v40                         // 000000004EF8: D0C1004A 00025099
	v_cndmask_b32_e64 v96, v55, v96, s[72:73]                  // 000000004F00: D1000060 0122C137
	v_cndmask_b32_e64 v97, v55, v97, s[74:75]                  // 000000004F08: D1000061 012AC337
	v_cmp_lt_i32_e64 s[72:73], 26, v40                         // 000000004F10: D0C10048 0002509A
	v_cmp_lt_i32_e64 s[74:75], 27, v40                         // 000000004F18: D0C1004A 0002509B
	v_cndmask_b32_e64 v98, v55, v98, s[72:73]                  // 000000004F20: D1000062 0122C537
	v_cndmask_b32_e64 v99, v55, v99, s[74:75]                  // 000000004F28: D1000063 012AC737

0000000000004f30 <label_070C>:
	s_waitcnt vmcnt(12) lgkmcnt(12)                            // 000000004F30: BF8C0C7C
	s_barrier                                                  // 000000004F34: BF8A0000
	v_mfma_f32_32x32x8_bf16 v[100:115], a[144:145], v[68:69], v[100:115]// 000000004F38: D3E00064 0D928990
	buffer_load_dword v172, v28, s[16:19], s35 offen           // 000000004F40: E0501000 2304AC1C
	v_max3_f32 v49, v84, v85, v52                              // 000000004F48: D1D30031 04D2AB54
	v_max3_f32 v49, v86, v87, v49                              // 000000004F50: D1D30031 04C6AF56
	v_max3_f32 v49, v88, v89, v49                              // 000000004F58: D1D30031 04C6B358
	v_max3_f32 v49, v90, v91, v49                              // 000000004F60: D1D30031 04C6B75A
	v_max3_f32 v49, v92, v93, v49                              // 000000004F68: D1D30031 04C6BB5C
	v_max3_f32 v49, v94, v95, v49                              // 000000004F70: D1D30031 04C6BF5E
	v_mfma_f32_32x32x8_bf16 v[100:115], a[146:147], v[70:71], v[100:115]// 000000004F78: D3E00064 0D928D92
	v_max3_f32 v49, v96, v97, v49                              // 000000004F80: D1D30031 04C6C360
	v_max3_f32 v49, v98, v99, v49                              // 000000004F88: D1D30031 04C6C762
	ds_permute_b32 v48, v56, v49                               // 000000004F90: D87C0000 30003138
	v_mfma_f32_32x32x8_bf16 v[100:115], a[148:149], v[72:73], v[100:115]// 000000004F98: D3E00064 0D929194
	buffer_load_dword v173, v29, s[16:19], s35 offen           // 000000004FA0: E0501000 2304AD1D
	v_perm_b32 v180, v165, v164, s50                           // 000000004FA8: D1ED00B4 00CB49A5
	v_perm_b32 v184, v165, v164, s49                           // 000000004FB0: D1ED00B8 00C749A5
	v_perm_b32 v181, v167, v166, s50                           // 000000004FB8: D1ED00B5 00CB4DA7
	v_perm_b32 v185, v167, v166, s49                           // 000000004FC0: D1ED00B9 00C74DA7
	v_nop                                                      // 000000004FC8: 7E000000
	s_nop 0                                                    // 000000004FCC: BF800000
	v_mfma_f32_32x32x8_bf16 v[100:115], a[150:151], v[74:75], v[100:115]// 000000004FD0: D3E00064 0D929596
	v_perm_b32 v182, v169, v168, s50                           // 000000004FD8: D1ED00B6 00CB51A9
	v_perm_b32 v186, v169, v168, s49                           // 000000004FE0: D1ED00BA 00C751A9
	v_perm_b32 v183, v171, v170, s50                           // 000000004FE8: D1ED00B7 00CB55AB
	v_perm_b32 v187, v171, v170, s49                           // 000000004FF0: D1ED00BB 00C755AB
	v_nop                                                      // 000000004FF8: 7E000000
	v_mfma_f32_32x32x8_bf16 v[116:131], a[152:153], v[68:69], v[116:131]// 000000004FFC: D3E00074 0DD28998
	buffer_load_dword v174, v30, s[16:19], s35 offen           // 000000005004: E0501000 2304AE1E
	s_waitcnt lgkmcnt(0)                                       // 00000000500C: BF8CC07F
	v_max_f32_e32 v49, v48, v49                                // 000000005010: 16626330
	v_sub_f32_e32 v44, v52, v49                                // 000000005014: 04586334
	v_mov_b32_e32 v52, v49                                     // 000000005018: 7E680331
	v_mul_f32_e32 v51, s56, v49                                // 00000000501C: 0A666238
	v_mfma_f32_32x32x8_bf16 v[116:131], a[154:155], v[70:71], v[116:131]// 000000005020: D3E00074 0DD28D9A
	v_mul_f32_e32 v44, s56, v44                                // 000000005028: 0A585838
	v_exp_f32_e32 v44, v44                                     // 00000000502C: 7E58412C
	v_fma_f32 v84, v84, s56, -v51                              // 000000005030: D1CB0054 84CC7154
	v_fma_f32 v85, v85, s56, -v51                              // 000000005038: D1CB0055 84CC7155
	v_mfma_f32_32x32x8_bf16 v[116:131], a[156:157], v[72:73], v[116:131]// 000000005040: D3E00074 0DD2919C
	buffer_load_dword v175, v31, s[16:19], s35 offen           // 000000005048: E0501000 2304AF1F
	ds_read_b128 a[176:179], v37 offset:34432                  // 000000005050: DBFE8680 B0000025
	ds_read_b128 a[180:183], v37 offset:36480                  // 000000005058: DBFE8E80 B4000025
	ds_read_b128 a[184:187], v37 offset:34688                  // 000000005060: DBFE8780 B8000025
	ds_read_b128 a[188:191], v37 offset:36736                  // 000000005068: DBFE8F80 BC000025
	v_mfma_f32_32x32x8_bf16 v[116:131], a[158:159], v[74:75], v[116:131]// 000000005070: D3E00074 0DD2959E
	v_fma_f32 v86, v86, s56, -v51                              // 000000005078: D1CB0056 84CC7156
	v_fma_f32 v87, v87, s56, -v51                              // 000000005080: D1CB0057 84CC7157
	v_fma_f32 v88, v88, s56, -v51                              // 000000005088: D1CB0058 84CC7158
	v_fma_f32 v89, v89, s56, -v51                              // 000000005090: D1CB0059 84CC7159
	v_fma_f32 v90, v90, s56, -v51                              // 000000005098: D1CB005A 84CC715A
	v_fma_f32 v91, v91, s56, -v51                              // 0000000050A0: D1CB005B 84CC715B
	v_fma_f32 v92, v92, s56, -v51                              // 0000000050A8: D1CB005C 84CC715C
	v_mfma_f32_32x32x8_bf16 v[132:147], a[160:161], v[68:69], v[132:147]// 0000000050B0: D3E00084 0E1289A0
	buffer_load_dword v176, v32, s[16:19], s35 offen           // 0000000050B8: E0501000 2304B020
	v_fma_f32 v93, v93, s56, -v51                              // 0000000050C0: D1CB005D 84CC715D
	v_fma_f32 v94, v94, s56, -v51                              // 0000000050C8: D1CB005E 84CC715E
	v_fma_f32 v95, v95, s56, -v51                              // 0000000050D0: D1CB005F 84CC715F
	v_fma_f32 v96, v96, s56, -v51                              // 0000000050D8: D1CB0060 84CC7160
	v_fma_f32 v97, v97, s56, -v51                              // 0000000050E0: D1CB0061 84CC7161
	v_fma_f32 v98, v98, s56, -v51                              // 0000000050E8: D1CB0062 84CC7162
	v_mfma_f32_32x32x8_bf16 v[132:147], a[162:163], v[70:71], v[132:147]// 0000000050F0: D3E00084 0E128DA2
	v_fma_f32 v99, v99, s56, -v51                              // 0000000050F8: D1CB0063 84CC7163
	v_exp_f32_e32 v84, v84                                     // 000000005100: 7EA84154
	v_exp_f32_e32 v85, v85                                     // 000000005104: 7EAA4155
	v_mfma_f32_32x32x8_bf16 v[132:147], a[164:165], v[72:73], v[132:147]// 000000005108: D3E00084 0E1291A4
	buffer_load_dword v177, v33, s[16:19], s35 offen           // 000000005110: E0501000 2304B121
	ds_read_b128 a[192:195], v37 offset:34944                  // 000000005118: DBFE8880 C0000025
	ds_read_b128 a[196:199], v37 offset:36992                  // 000000005120: DBFE9080 C4000025
	ds_read_b128 a[200:203], v37 offset:35200                  // 000000005128: DBFE8980 C8000025
	ds_read_b128 a[204:207], v37 offset:37248                  // 000000005130: DBFE9180 CC000025
	v_mfma_f32_32x32x8_bf16 v[132:147], a[166:167], v[74:75], v[132:147]// 000000005138: D3E00084 0E1295A6
	v_exp_f32_e32 v86, v86                                     // 000000005140: 7EAC4156
	v_exp_f32_e32 v87, v87                                     // 000000005144: 7EAE4157
	v_mfma_f32_32x32x8_bf16 v[148:163], a[168:169], v[68:69], v[148:163]// 000000005148: D3E00094 0E5289A8
	buffer_load_dword v178, v34, s[16:19], s35 offen           // 000000005150: E0501000 2304B222
	v_exp_f32_e32 v88, v88                                     // 000000005158: 7EB04158
	v_exp_f32_e32 v89, v89                                     // 00000000515C: 7EB24159
	v_mfma_f32_32x32x8_bf16 v[148:163], a[170:171], v[70:71], v[148:163]// 000000005160: D3E00094 0E528DAA
	v_exp_f32_e32 v90, v90                                     // 000000005168: 7EB4415A
	v_exp_f32_e32 v91, v91                                     // 00000000516C: 7EB6415B
	v_mfma_f32_32x32x8_bf16 v[148:163], a[172:173], v[72:73], v[148:163]// 000000005170: D3E00094 0E5291AC
	buffer_load_dword v179, v35, s[16:19], s35 offen           // 000000005178: E0501000 2304B323
	v_exp_f32_e32 v92, v92                                     // 000000005180: 7EB8415C
	v_exp_f32_e32 v93, v93                                     // 000000005184: 7EBA415D
	v_mfma_f32_32x32x8_bf16 v[148:163], a[174:175], v[74:75], v[148:163]// 000000005188: D3E00094 0E5295AE
	v_exp_f32_e32 v94, v94                                     // 000000005190: 7EBC415E
	s_add_i32 s35, s44, s35                                    // 000000005194: 8123232C
	s_add_i32 s52, s52, s53                                    // 000000005198: 81343534
	s_addk_i32 s39, 0x20                                       // 00000000519C: B7270020
	s_cmp_lt_i32 s39, s38                                      // 0000000051A0: BF042627
	v_mov_b32_e32 v45, v44                                     // 0000000051A4: 7E5A032C
	v_mul_f32_e32 v128, v44, v128                              // 0000000051A8: 0B01012C
	v_mul_f32_e32 v129, v44, v129                              // 0000000051AC: 0B03032C
	v_pk_mul_f32 v[130:131], v[44:45], v[130:131]              // 0000000051B0: D3B14082 1803052C
	v_pk_mul_f32 v[132:133], v[44:45], v[132:133]              // 0000000051B8: D3B14084 1803092C
	v_pk_mul_f32 v[134:135], v[44:45], v[134:135]              // 0000000051C0: D3B14086 18030D2C
	v_pk_mul_f32 v[136:137], v[44:45], v[136:137]              // 0000000051C8: D3B14088 1803112C
	v_pk_mul_f32 v[138:139], v[44:45], v[138:139]              // 0000000051D0: D3B1408A 1803152C
	v_pk_mul_f32 v[140:141], v[44:45], v[140:141]              // 0000000051D8: D3B1408C 1803192C
	v_pk_mul_f32 v[142:143], v[44:45], v[142:143]              // 0000000051E0: D3B1408E 18031D2C
	v_pk_mul_f32 v[144:145], v[44:45], v[144:145]              // 0000000051E8: D3B14090 1803212C
	v_pk_mul_f32 v[146:147], v[44:45], v[146:147]              // 0000000051F0: D3B14092 1803252C
	v_pk_mul_f32 v[148:149], v[44:45], v[148:149]              // 0000000051F8: D3B14094 1803292C
	v_pk_mul_f32 v[150:151], v[44:45], v[150:151]              // 000000005200: D3B14096 18032D2C
	v_pk_mul_f32 v[152:153], v[44:45], v[152:153]              // 000000005208: D3B14098 1803312C
	v_pk_mul_f32 v[154:155], v[44:45], v[154:155]              // 000000005210: D3B1409A 1803352C
	v_pk_mul_f32 v[156:157], v[44:45], v[156:157]              // 000000005218: D3B1409C 1803392C
	v_pk_mul_f32 v[158:159], v[44:45], v[158:159]              // 000000005220: D3B1409E 18033D2C
	v_pk_mul_f32 v[160:161], v[44:45], v[160:161]              // 000000005228: D3B140A0 1803412C
	v_pk_mul_f32 v[162:163], v[44:45], v[162:163]              // 000000005230: D3B140A2 1803452C
	s_cbranch_scc0 label_0F28                                  // 000000005238: BF840759
	s_waitcnt vmcnt(8) lgkmcnt(8)                              // 00000000523C: BF8C0878
	s_barrier                                                  // 000000005240: BF8A0000
	v_mfma_f32_32x32x8_bf16 v[68:83], a[48:49], a[0:1], 0      // 000000005244: D3E00044 1A020130
	s_mov_b32 m0, s68                                          // 00000000524C: BEFC0044
	buffer_load_dword v16, s[12:15], s60 offen lds             // 000000005250: E0511000 3C030010
	ds_write_b128 v38, v[180:183] offset:26112                 // 000000005258: D9BE6600 0000B426
	v_mfma_f32_32x32x8_bf16 v[68:83], a[50:51], a[2:3], v[68:83]// 000000005260: D3E00044 1D120532
	v_exp_f32_e32 v95, v95                                     // 000000005268: 7EBE415F
	v_exp_f32_e32 v96, v96                                     // 00000000526C: 7EC04160
	v_mfma_f32_32x32x8_bf16 v[68:83], a[52:53], a[4:5], v[68:83]// 000000005270: D3E00044 1D120934
	s_add_u32 m0, 0x440, m0                                    // 000000005278: 807C7CFF 00000440
	buffer_load_dword v17, s[12:15], s60 offen lds             // 000000005280: E0511000 3C030011
	ds_write_b128 v38, v[184:187] offset:30272                 // 000000005288: D9BE7640 0000B826
	v_mfma_f32_32x32x8_bf16 v[68:83], a[54:55], a[6:7], v[68:83]// 000000005290: D3E00044 1D120D36
	v_exp_f32_e32 v97, v97                                     // 000000005298: 7EC24161
	v_exp_f32_e32 v98, v98                                     // 00000000529C: 7EC44162
	v_mfma_f32_32x32x8_bf16 v[68:83], a[56:57], a[8:9], v[68:83]// 0000000052A0: D3E00044 1D121138
	s_add_u32 m0, 0x440, m0                                    // 0000000052A8: 807C7CFF 00000440
	buffer_load_dword v18, s[12:15], s60 offen lds             // 0000000052B0: E0511000 3C030012
	ds_read_b128 a[96:99], v36 offset:13056                    // 0000000052B8: DBFE3300 60000024
	ds_read_b128 a[100:103], v36 offset:13088                  // 0000000052C0: DBFE3320 64000024
	v_exp_f32_e32 v99, v99                                     // 0000000052C8: 7EC64163
	v_mfma_f32_32x32x8_bf16 v[68:83], a[58:59], a[10:11], v[68:83]// 0000000052CC: D3E00044 1D12153A
	v_mul_f32_e32 v46, v44, v46                                // 0000000052D4: 0A5C5D2C
	v_add_f32_e32 v62, v85, v84                                // 0000000052D8: 027CA955
	v_add_f32_e32 v62, v86, v62                                // 0000000052DC: 027C7D56
	v_add_f32_e32 v62, v87, v62                                // 0000000052E0: 027C7D57
	v_add_f32_e32 v62, v88, v62                                // 0000000052E4: 027C7D58
	v_add_f32_e32 v62, v89, v62                                // 0000000052E8: 027C7D59
	v_add_f32_e32 v62, v90, v62                                // 0000000052EC: 027C7D5A
	v_mfma_f32_32x32x8_bf16 v[68:83], a[60:61], a[12:13], v[68:83]// 0000000052F0: D3E00044 1D12193C
	s_add_u32 m0, 0x440, m0                                    // 0000000052F8: 807C7CFF 00000440
	buffer_load_dword v19, s[12:15], s60 offen lds             // 000000005300: E0511000 3C030013
	ds_read_b128 a[104:107], v36 offset:13120                  // 000000005308: DBFE3340 68000024
	ds_read_b128 a[108:111], v36 offset:13152                  // 000000005310: DBFE3360 6C000024
	v_add_f32_e32 v62, v91, v62                                // 000000005318: 027C7D5B
	v_add_f32_e32 v62, v92, v62                                // 00000000531C: 027C7D5C
	v_mfma_f32_32x32x8_bf16 v[68:83], a[62:63], a[14:15], v[68:83]// 000000005320: D3E00044 1D121D3E
	v_add_f32_e32 v62, v93, v62                                // 000000005328: 027C7D5D
	v_add_f32_e32 v62, v94, v62                                // 00000000532C: 027C7D5E
	v_add_f32_e32 v62, v95, v62                                // 000000005330: 027C7D5F
	v_add_f32_e32 v62, v96, v62                                // 000000005334: 027C7D60
	v_add_f32_e32 v62, v97, v62                                // 000000005338: 027C7D61
	v_add_f32_e32 v62, v98, v62                                // 00000000533C: 027C7D62
	v_add_f32_e32 v62, v99, v62                                // 000000005340: 027C7D63
	v_mfma_f32_32x32x8_bf16 v[68:83], a[64:65], a[16:17], v[68:83]// 000000005344: D3E00044 1D122140
	s_add_u32 m0, 0x440, m0                                    // 00000000534C: 807C7CFF 00000440
	buffer_load_dword v20, s[12:15], s60 offen lds             // 000000005354: E0511000 3C030014
	ds_read_b128 a[112:115], v36 offset:17408                  // 00000000535C: DBFE4400 70000024
	ds_read_b128 a[116:119], v36 offset:17440                  // 000000005364: DBFE4420 74000024
	v_add_f32_e32 v46, v62, v46                                // 00000000536C: 025C5D3E
	v_mul_f32_e32 v100, v44, v100                              // 000000005370: 0AC8C92C
	v_mfma_f32_32x32x8_bf16 v[68:83], a[66:67], a[18:19], v[68:83]// 000000005374: D3E00044 1D122542
	v_mul_f32_e32 v101, v44, v101                              // 00000000537C: 0ACACB2C
	v_mul_f32_e32 v102, v44, v102                              // 000000005380: 0ACCCD2C
	v_mul_f32_e32 v103, v44, v103                              // 000000005384: 0ACECF2C
	v_mul_f32_e32 v104, v44, v104                              // 000000005388: 0AD0D12C
	v_mul_f32_e32 v105, v44, v105                              // 00000000538C: 0AD2D32C
	v_mul_f32_e32 v106, v44, v106                              // 000000005390: 0AD4D52C
	v_mul_f32_e32 v107, v44, v107                              // 000000005394: 0AD6D72C
	v_mfma_f32_32x32x8_bf16 v[68:83], a[68:69], a[20:21], v[68:83]// 000000005398: D3E00044 1D122944
	s_add_u32 m0, 0x440, m0                                    // 0000000053A0: 807C7CFF 00000440
	buffer_load_dword v21, s[12:15], s60 offen lds             // 0000000053A8: E0511000 3C030015
	ds_read_b128 a[120:123], v36 offset:17472                  // 0000000053B0: DBFE4440 78000024
	ds_read_b128 a[124:127], v36 offset:17504                  // 0000000053B8: DBFE4460 7C000024
	v_mul_f32_e32 v108, v44, v108                              // 0000000053C0: 0AD8D92C
	v_mul_f32_e32 v109, v44, v109                              // 0000000053C4: 0ADADB2C
	v_mfma_f32_32x32x8_bf16 v[68:83], a[70:71], a[22:23], v[68:83]// 0000000053C8: D3E00044 1D122D46
	v_mul_f32_e32 v110, v44, v110                              // 0000000053D0: 0ADCDD2C
	v_mul_f32_e32 v111, v44, v111                              // 0000000053D4: 0ADEDF2C
	v_mul_f32_e32 v112, v44, v112                              // 0000000053D8: 0AE0E12C
	v_mul_f32_e32 v113, v44, v113                              // 0000000053DC: 0AE2E32C
	v_mul_f32_e32 v114, v44, v114                              // 0000000053E0: 0AE4E52C
	v_mul_f32_e32 v115, v44, v115                              // 0000000053E4: 0AE6E72C
	v_mul_f32_e32 v116, v44, v116                              // 0000000053E8: 0AE8E92C
	v_mfma_f32_32x32x8_bf16 v[68:83], a[72:73], a[24:25], v[68:83]// 0000000053EC: D3E00044 1D123148
	s_add_u32 m0, 0x440, m0                                    // 0000000053F4: 807C7CFF 00000440
	buffer_load_dword v22, s[12:15], s60 offen lds             // 0000000053FC: E0511000 3C030016
	ds_read_b128 a[128:131], v36 offset:21760                  // 000000005404: DBFE5500 80000024
	ds_read_b128 a[132:135], v36 offset:21792                  // 00000000540C: DBFE5520 84000024
	v_mul_f32_e32 v117, v44, v117                              // 000000005414: 0AEAEB2C
	v_mul_f32_e32 v118, v44, v118                              // 000000005418: 0AECED2C
	v_mfma_f32_32x32x8_bf16 v[68:83], a[74:75], a[26:27], v[68:83]// 00000000541C: D3E00044 1D12354A
	v_mul_f32_e32 v119, v44, v119                              // 000000005424: 0AEEEF2C
	v_mul_f32_e32 v120, v44, v120                              // 000000005428: 0AF0F12C
	v_mul_f32_e32 v121, v44, v121                              // 00000000542C: 0AF2F32C
	v_mul_f32_e32 v122, v44, v122                              // 000000005430: 0AF4F52C
	v_mul_f32_e32 v123, v44, v123                              // 000000005434: 0AF6F72C
	v_mul_f32_e32 v124, v44, v124                              // 000000005438: 0AF8F92C
	v_mul_f32_e32 v125, v44, v125                              // 00000000543C: 0AFAFB2C
	v_mfma_f32_32x32x8_bf16 v[68:83], a[76:77], a[28:29], v[68:83]// 000000005440: D3E00044 1D12394C
	s_add_u32 m0, 0x440, m0                                    // 000000005448: 807C7CFF 00000440
	buffer_load_dword v23, s[12:15], s60 offen lds             // 000000005450: E0511000 3C030017
	ds_read_b128 a[136:139], v36 offset:21824                  // 000000005458: DBFE5540 88000024
	ds_read_b128 a[140:143], v36 offset:21856                  // 000000005460: DBFE5560 8C000024
	v_mul_f32_e32 v126, v44, v126                              // 000000005468: 0AFCFD2C
	v_mul_f32_e32 v127, v44, v127                              // 00000000546C: 0AFEFF2C
	v_mfma_f32_32x32x8_bf16 v[68:83], a[78:79], a[30:31], v[68:83]// 000000005470: D3E00044 1D123D4E
	v_cmp_u_f32_e64 s[70:71], v84, v84                         // 000000005478: D0480046 0002A954
	v_add3_u32 v64, v84, v67, 1                                // 000000005480: D1FF0040 02068754
	v_cndmask_b32_e64 v40, v64, v66, s[70:71]                  // 000000005488: D1000028 011A8540
	v_cmp_u_f32_e64 s[70:71], v85, v85                         // 000000005490: D0480046 0002AB55
	v_add3_u32 v64, v85, v67, 1                                // 000000005498: D1FF0040 02068755
	v_cndmask_b32_e64 v41, v64, v66, s[70:71]                  // 0000000054A0: D1000029 011A8540
	v_perm_b32 v84, v41, v40, s49                              // 0000000054A8: D1ED0054 00C65129
	v_mfma_f32_32x32x8_bf16 v[68:83], a[80:81], a[32:33], v[68:83]// 0000000054B0: D3E00044 1D124150
	s_add_u32 m0, 0x440, m0                                    // 0000000054B8: 807C7CFF 00000440
	buffer_load_dword v24, s[12:15], s60 offen lds             // 0000000054C0: E0511000 3C030018
	v_cmp_u_f32_e64 s[70:71], v86, v86                         // 0000000054C8: D0480046 0002AD56
	v_add3_u32 v64, v86, v67, 1                                // 0000000054D0: D1FF0040 02068756
	v_cndmask_b32_e64 v40, v64, v66, s[70:71]                  // 0000000054D8: D1000028 011A8540
	v_cmp_u_f32_e64 s[70:71], v87, v87                         // 0000000054E0: D0480046 0002AF57
	v_add3_u32 v64, v87, v67, 1                                // 0000000054E8: D1FF0040 02068757
	v_cndmask_b32_e64 v41, v64, v66, s[70:71]                  // 0000000054F0: D1000029 011A8540
	v_perm_b32 v85, v41, v40, s49                              // 0000000054F8: D1ED0055 00C65129
	v_mfma_f32_32x32x8_bf16 v[68:83], a[82:83], a[34:35], v[68:83]// 000000005500: D3E00044 1D124552
	v_cmp_u_f32_e64 s[70:71], v88, v88                         // 000000005508: D0480046 0002B158
	v_add3_u32 v64, v88, v67, 1                                // 000000005510: D1FF0040 02068758
	v_cndmask_b32_e64 v40, v64, v66, s[70:71]                  // 000000005518: D1000028 011A8540
	v_cmp_u_f32_e64 s[70:71], v89, v89                         // 000000005520: D0480046 0002B359
	v_add3_u32 v64, v89, v67, 1                                // 000000005528: D1FF0040 02068759
	v_cndmask_b32_e64 v41, v64, v66, s[70:71]                  // 000000005530: D1000029 011A8540
	v_perm_b32 v86, v41, v40, s49                              // 000000005538: D1ED0056 00C65129
	v_mfma_f32_32x32x8_bf16 v[68:83], a[84:85], a[36:37], v[68:83]// 000000005540: D3E00044 1D124954
	s_add_u32 m0, 0x440, m0                                    // 000000005548: 807C7CFF 00000440
	buffer_load_dword v25, s[12:15], s60 offen lds             // 000000005550: E0511000 3C030019
	v_cmp_u_f32_e64 s[70:71], v90, v90                         // 000000005558: D0480046 0002B55A
	v_add3_u32 v64, v90, v67, 1                                // 000000005560: D1FF0040 0206875A
	v_cndmask_b32_e64 v40, v64, v66, s[70:71]                  // 000000005568: D1000028 011A8540
	v_cmp_u_f32_e64 s[70:71], v91, v91                         // 000000005570: D0480046 0002B75B
	v_add3_u32 v64, v91, v67, 1                                // 000000005578: D1FF0040 0206875B
	v_cndmask_b32_e64 v41, v64, v66, s[70:71]                  // 000000005580: D1000029 011A8540
	v_perm_b32 v87, v41, v40, s49                              // 000000005588: D1ED0057 00C65129
	v_mfma_f32_32x32x8_bf16 v[68:83], a[86:87], a[38:39], v[68:83]// 000000005590: D3E00044 1D124D56
	v_cmp_u_f32_e64 s[70:71], v92, v92                         // 000000005598: D0480046 0002B95C
	v_add3_u32 v64, v92, v67, 1                                // 0000000055A0: D1FF0040 0206875C
	v_cndmask_b32_e64 v40, v64, v66, s[70:71]                  // 0000000055A8: D1000028 011A8540
	v_cmp_u_f32_e64 s[70:71], v93, v93                         // 0000000055B0: D0480046 0002BB5D
	v_add3_u32 v64, v93, v67, 1                                // 0000000055B8: D1FF0040 0206875D
	v_cndmask_b32_e64 v41, v64, v66, s[70:71]                  // 0000000055C0: D1000029 011A8540
	v_perm_b32 v88, v41, v40, s49                              // 0000000055C8: D1ED0058 00C65129
	v_mfma_f32_32x32x8_bf16 v[68:83], a[88:89], a[40:41], v[68:83]// 0000000055D0: D3E00044 1D125158
	s_add_u32 m0, 0x440, m0                                    // 0000000055D8: 807C7CFF 00000440
	buffer_load_dword v26, s[12:15], s60 offen lds             // 0000000055E0: E0511000 3C03001A
	v_cmp_u_f32_e64 s[70:71], v94, v94                         // 0000000055E8: D0480046 0002BD5E
	v_add3_u32 v64, v94, v67, 1                                // 0000000055F0: D1FF0040 0206875E
	v_cndmask_b32_e64 v40, v64, v66, s[70:71]                  // 0000000055F8: D1000028 011A8540
	v_cmp_u_f32_e64 s[70:71], v95, v95                         // 000000005600: D0480046 0002BF5F
	v_add3_u32 v64, v95, v67, 1                                // 000000005608: D1FF0040 0206875F
	v_cndmask_b32_e64 v41, v64, v66, s[70:71]                  // 000000005610: D1000029 011A8540
	v_perm_b32 v89, v41, v40, s49                              // 000000005618: D1ED0059 00C65129
	v_mfma_f32_32x32x8_bf16 v[68:83], a[90:91], a[42:43], v[68:83]// 000000005620: D3E00044 1D12555A
	v_cmp_u_f32_e64 s[70:71], v96, v96                         // 000000005628: D0480046 0002C160
	v_add3_u32 v64, v96, v67, 1                                // 000000005630: D1FF0040 02068760
	v_cndmask_b32_e64 v40, v64, v66, s[70:71]                  // 000000005638: D1000028 011A8540
	v_cmp_u_f32_e64 s[70:71], v97, v97                         // 000000005640: D0480046 0002C361
	v_add3_u32 v64, v97, v67, 1                                // 000000005648: D1FF0040 02068761
	v_cndmask_b32_e64 v41, v64, v66, s[70:71]                  // 000000005650: D1000029 011A8540
	v_perm_b32 v90, v41, v40, s49                              // 000000005658: D1ED005A 00C65129
	v_mfma_f32_32x32x8_bf16 v[68:83], a[92:93], a[44:45], v[68:83]// 000000005660: D3E00044 1D12595C
	s_add_u32 m0, 0x440, m0                                    // 000000005668: 807C7CFF 00000440
	buffer_load_dword v27, s[12:15], s60 offen lds             // 000000005670: E0511000 3C03001B
	v_cmp_u_f32_e64 s[70:71], v98, v98                         // 000000005678: D0480046 0002C562
	v_add3_u32 v64, v98, v67, 1                                // 000000005680: D1FF0040 02068762
	v_cndmask_b32_e64 v40, v64, v66, s[70:71]                  // 000000005688: D1000028 011A8540
	v_cmp_u_f32_e64 s[70:71], v99, v99                         // 000000005690: D0480046 0002C763
	v_add3_u32 v64, v99, v67, 1                                // 000000005698: D1FF0040 02068763
	v_cndmask_b32_e64 v41, v64, v66, s[70:71]                  // 0000000056A0: D1000029 011A8540
	v_perm_b32 v91, v41, v40, s49                              // 0000000056A8: D1ED005B 00C65129
	v_mfma_f32_32x32x8_bf16 v[68:83], a[94:95], a[46:47], v[68:83]// 0000000056B0: D3E00044 1D125D5E
	s_add_i32 s60, s43, s60                                    // 0000000056B8: 813C3C2B
	s_cmp_lt_i32 s52, s51                                      // 0000000056BC: BF043334
	s_cbranch_scc1 label_097E                                  // 0000000056C0: BF85008D
	s_nop 0                                                    // 0000000056C4: BF800000
	s_sub_i32 s40, s51, s52                                    // 0000000056C8: 81A83433
	s_sub_i32 s41, s7, s30                                     // 0000000056CC: 81A91E07
	s_and_b32 s41, s41, 31                                     // 0000000056D0: 86299F29
	s_add_i32 s40, s40, s41                                    // 0000000056D4: 81282928
	v_add_i32 v40, v53, s40                                    // 0000000056D8: D29C0028 00005135
	v_cmp_lt_i32_e64 s[72:73], v40, 0                          // 0000000056E0: D0C10048 00010128
	v_cmp_lt_i32_e64 s[74:75], v40, 1                          // 0000000056E8: D0C1004A 00010328
	v_cndmask_b32_e64 v68, v68, v55, s[72:73]                  // 0000000056F0: D1000044 01226F44
	v_cndmask_b32_e64 v69, v69, v55, s[74:75]                  // 0000000056F8: D1000045 012A6F45
	v_cmp_lt_i32_e64 s[72:73], v40, 2                          // 000000005700: D0C10048 00010528
	v_cmp_lt_i32_e64 s[74:75], v40, 3                          // 000000005708: D0C1004A 00010728
	v_cndmask_b32_e64 v70, v70, v55, s[72:73]                  // 000000005710: D1000046 01226F46
	v_cndmask_b32_e64 v71, v71, v55, s[74:75]                  // 000000005718: D1000047 012A6F47
	v_cmp_lt_i32_e64 s[72:73], v40, 8                          // 000000005720: D0C10048 00011128
	v_cmp_lt_i32_e64 s[74:75], v40, 9                          // 000000005728: D0C1004A 00011328
	v_cndmask_b32_e64 v72, v72, v55, s[72:73]                  // 000000005730: D1000048 01226F48
	v_cndmask_b32_e64 v73, v73, v55, s[74:75]                  // 000000005738: D1000049 012A6F49
	v_cmp_lt_i32_e64 s[72:73], v40, 10                         // 000000005740: D0C10048 00011528
	v_cmp_lt_i32_e64 s[74:75], v40, 11                         // 000000005748: D0C1004A 00011728
	v_cndmask_b32_e64 v74, v74, v55, s[72:73]                  // 000000005750: D100004A 01226F4A
	v_cndmask_b32_e64 v75, v75, v55, s[74:75]                  // 000000005758: D100004B 012A6F4B
	v_cmp_lt_i32_e64 s[72:73], v40, 16                         // 000000005760: D0C10048 00012128
	v_cmp_lt_i32_e64 s[74:75], v40, 17                         // 000000005768: D0C1004A 00012328
	v_cndmask_b32_e64 v76, v76, v55, s[72:73]                  // 000000005770: D100004C 01226F4C
	v_cndmask_b32_e64 v77, v77, v55, s[74:75]                  // 000000005778: D100004D 012A6F4D
	v_cmp_lt_i32_e64 s[72:73], v40, 18                         // 000000005780: D0C10048 00012528
	v_cmp_lt_i32_e64 s[74:75], v40, 19                         // 000000005788: D0C1004A 00012728
	v_cndmask_b32_e64 v78, v78, v55, s[72:73]                  // 000000005790: D100004E 01226F4E
	v_cndmask_b32_e64 v79, v79, v55, s[74:75]                  // 000000005798: D100004F 012A6F4F
	v_cmp_lt_i32_e64 s[72:73], v40, 24                         // 0000000057A0: D0C10048 00013128
	v_cmp_lt_i32_e64 s[74:75], v40, 25                         // 0000000057A8: D0C1004A 00013328
	v_cndmask_b32_e64 v80, v80, v55, s[72:73]                  // 0000000057B0: D1000050 01226F50
	v_cndmask_b32_e64 v81, v81, v55, s[74:75]                  // 0000000057B8: D1000051 012A6F51
	v_cmp_lt_i32_e64 s[72:73], v40, 26                         // 0000000057C0: D0C10048 00013528
	v_cmp_lt_i32_e64 s[74:75], v40, 27                         // 0000000057C8: D0C1004A 00013728
	v_cndmask_b32_e64 v82, v82, v55, s[72:73]                  // 0000000057D0: D1000052 01226F52
	v_cndmask_b32_e64 v83, v83, v55, s[74:75]                  // 0000000057D8: D1000053 012A6F53
	s_nop 0                                                    // 0000000057E0: BF800000
	s_cmp_lt_i32 s52, s54                                      // 0000000057E4: BF043634
	s_cbranch_scc1 label_097E                                  // 0000000057E8: BF850043
	s_sub_i32 s40, s7, s52                                     // 0000000057EC: 81A83407
	v_sub_i32 v40, s40, v54                                    // 0000000057F0: D29D0028 00026C28
	v_cmp_lt_i32_e64 s[72:73], 0, v40                          // 0000000057F8: D0C10048 00025080
	v_cmp_lt_i32_e64 s[74:75], 1, v40                          // 000000005800: D0C1004A 00025081
	v_cndmask_b32_e64 v68, v55, v68, s[72:73]                  // 000000005808: D1000044 01228937
	v_cndmask_b32_e64 v69, v55, v69, s[74:75]                  // 000000005810: D1000045 012A8B37
	v_cmp_lt_i32_e64 s[72:73], 2, v40                          // 000000005818: D0C10048 00025082
	v_cmp_lt_i32_e64 s[74:75], 3, v40                          // 000000005820: D0C1004A 00025083
	v_cndmask_b32_e64 v70, v55, v70, s[72:73]                  // 000000005828: D1000046 01228D37
	v_cndmask_b32_e64 v71, v55, v71, s[74:75]                  // 000000005830: D1000047 012A8F37
	v_cmp_lt_i32_e64 s[72:73], 8, v40                          // 000000005838: D0C10048 00025088
	v_cmp_lt_i32_e64 s[74:75], 9, v40                          // 000000005840: D0C1004A 00025089
	v_cndmask_b32_e64 v72, v55, v72, s[72:73]                  // 000000005848: D1000048 01229137
	v_cndmask_b32_e64 v73, v55, v73, s[74:75]                  // 000000005850: D1000049 012A9337
	v_cmp_lt_i32_e64 s[72:73], 10, v40                         // 000000005858: D0C10048 0002508A
	v_cmp_lt_i32_e64 s[74:75], 11, v40                         // 000000005860: D0C1004A 0002508B
	v_cndmask_b32_e64 v74, v55, v74, s[72:73]                  // 000000005868: D100004A 01229537
	v_cndmask_b32_e64 v75, v55, v75, s[74:75]                  // 000000005870: D100004B 012A9737
	v_cmp_lt_i32_e64 s[72:73], 16, v40                         // 000000005878: D0C10048 00025090
	v_cmp_lt_i32_e64 s[74:75], 17, v40                         // 000000005880: D0C1004A 00025091
	v_cndmask_b32_e64 v76, v55, v76, s[72:73]                  // 000000005888: D100004C 01229937
	v_cndmask_b32_e64 v77, v55, v77, s[74:75]                  // 000000005890: D100004D 012A9B37
	v_cmp_lt_i32_e64 s[72:73], 18, v40                         // 000000005898: D0C10048 00025092
	v_cmp_lt_i32_e64 s[74:75], 19, v40                         // 0000000058A0: D0C1004A 00025093
	v_cndmask_b32_e64 v78, v55, v78, s[72:73]                  // 0000000058A8: D100004E 01229D37
	v_cndmask_b32_e64 v79, v55, v79, s[74:75]                  // 0000000058B0: D100004F 012A9F37
	v_cmp_lt_i32_e64 s[72:73], 24, v40                         // 0000000058B8: D0C10048 00025098
	v_cmp_lt_i32_e64 s[74:75], 25, v40                         // 0000000058C0: D0C1004A 00025099
	v_cndmask_b32_e64 v80, v55, v80, s[72:73]                  // 0000000058C8: D1000050 0122A137
	v_cndmask_b32_e64 v81, v55, v81, s[74:75]                  // 0000000058D0: D1000051 012AA337
	v_cmp_lt_i32_e64 s[72:73], 26, v40                         // 0000000058D8: D0C10048 0002509A
	v_cmp_lt_i32_e64 s[74:75], 27, v40                         // 0000000058E0: D0C1004A 0002509B
	v_cndmask_b32_e64 v82, v55, v82, s[72:73]                  // 0000000058E8: D1000052 0122A537
	v_cndmask_b32_e64 v83, v55, v83, s[74:75]                  // 0000000058F0: D1000053 012AA737

00000000000058f8 <label_097E>:
	s_waitcnt vmcnt(12) lgkmcnt(12)                            // 0000000058F8: BF8C0C7C
	s_barrier                                                  // 0000000058FC: BF8A0000
	v_mfma_f32_32x32x8_bf16 v[100:115], a[176:177], v[84:85], v[100:115]// 000000005900: D3E00064 0D92A9B0
	buffer_load_dword v164, v28, s[16:19], s35 offen           // 000000005908: E0501000 2304A41C
	v_max3_f32 v49, v68, v69, v52                              // 000000005910: D1D30031 04D28B44
	v_max3_f32 v49, v70, v71, v49                              // 000000005918: D1D30031 04C68F46
	v_max3_f32 v49, v72, v73, v49                              // 000000005920: D1D30031 04C69348
	v_max3_f32 v49, v74, v75, v49                              // 000000005928: D1D30031 04C6974A
	v_max3_f32 v49, v76, v77, v49                              // 000000005930: D1D30031 04C69B4C
	v_max3_f32 v49, v78, v79, v49                              // 000000005938: D1D30031 04C69F4E
	v_mfma_f32_32x32x8_bf16 v[100:115], a[178:179], v[86:87], v[100:115]// 000000005940: D3E00064 0D92ADB2
	v_max3_f32 v49, v80, v81, v49                              // 000000005948: D1D30031 04C6A350
	v_max3_f32 v49, v82, v83, v49                              // 000000005950: D1D30031 04C6A752
	ds_permute_b32 v48, v56, v49                               // 000000005958: D87C0000 30003138
	v_mfma_f32_32x32x8_bf16 v[100:115], a[180:181], v[88:89], v[100:115]// 000000005960: D3E00064 0D92B1B4
	buffer_load_dword v165, v29, s[16:19], s35 offen           // 000000005968: E0501000 2304A51D
	v_perm_b32 v188, v173, v172, s50                           // 000000005970: D1ED00BC 00CB59AD
	v_perm_b32 v192, v173, v172, s49                           // 000000005978: D1ED00C0 00C759AD
	v_perm_b32 v189, v175, v174, s50                           // 000000005980: D1ED00BD 00CB5DAF
	v_perm_b32 v193, v175, v174, s49                           // 000000005988: D1ED00C1 00C75DAF
	v_nop                                                      // 000000005990: 7E000000
	s_nop 0                                                    // 000000005994: BF800000
	v_mfma_f32_32x32x8_bf16 v[100:115], a[182:183], v[90:91], v[100:115]// 000000005998: D3E00064 0D92B5B6
	v_perm_b32 v190, v177, v176, s50                           // 0000000059A0: D1ED00BE 00CB61B1
	v_perm_b32 v194, v177, v176, s49                           // 0000000059A8: D1ED00C2 00C761B1
	v_perm_b32 v191, v179, v178, s50                           // 0000000059B0: D1ED00BF 00CB65B3
	v_perm_b32 v195, v179, v178, s49                           // 0000000059B8: D1ED00C3 00C765B3
	v_nop                                                      // 0000000059C0: 7E000000
	v_mfma_f32_32x32x8_bf16 v[116:131], a[184:185], v[84:85], v[116:131]// 0000000059C4: D3E00074 0DD2A9B8
	buffer_load_dword v166, v30, s[16:19], s35 offen           // 0000000059CC: E0501000 2304A61E
	s_waitcnt lgkmcnt(0)                                       // 0000000059D4: BF8CC07F
	v_max_f32_e32 v49, v48, v49                                // 0000000059D8: 16626330
	v_sub_f32_e32 v44, v52, v49                                // 0000000059DC: 04586334
	v_mov_b32_e32 v52, v49                                     // 0000000059E0: 7E680331
	v_mul_f32_e32 v51, s56, v49                                // 0000000059E4: 0A666238
	v_mfma_f32_32x32x8_bf16 v[116:131], a[186:187], v[86:87], v[116:131]// 0000000059E8: D3E00074 0DD2ADBA
	v_mul_f32_e32 v44, s56, v44                                // 0000000059F0: 0A585838
	v_exp_f32_e32 v44, v44                                     // 0000000059F4: 7E58412C
	v_fma_f32 v68, v68, s56, -v51                              // 0000000059F8: D1CB0044 84CC7144
	v_fma_f32 v69, v69, s56, -v51                              // 000000005A00: D1CB0045 84CC7145
	v_mfma_f32_32x32x8_bf16 v[116:131], a[188:189], v[88:89], v[116:131]// 000000005A08: D3E00074 0DD2B1BC
	buffer_load_dword v167, v31, s[16:19], s35 offen           // 000000005A10: E0501000 2304A71F
	ds_read_b128 a[144:147], v37 offset:26112                  // 000000005A18: DBFE6600 90000025
	ds_read_b128 a[148:151], v37 offset:28160                  // 000000005A20: DBFE6E00 94000025
	ds_read_b128 a[152:155], v37 offset:26368                  // 000000005A28: DBFE6700 98000025
	ds_read_b128 a[156:159], v37 offset:28416                  // 000000005A30: DBFE6F00 9C000025
	v_mfma_f32_32x32x8_bf16 v[116:131], a[190:191], v[90:91], v[116:131]// 000000005A38: D3E00074 0DD2B5BE
	v_fma_f32 v70, v70, s56, -v51                              // 000000005A40: D1CB0046 84CC7146
	v_fma_f32 v71, v71, s56, -v51                              // 000000005A48: D1CB0047 84CC7147
	v_fma_f32 v72, v72, s56, -v51                              // 000000005A50: D1CB0048 84CC7148
	v_fma_f32 v73, v73, s56, -v51                              // 000000005A58: D1CB0049 84CC7149
	v_fma_f32 v74, v74, s56, -v51                              // 000000005A60: D1CB004A 84CC714A
	v_fma_f32 v75, v75, s56, -v51                              // 000000005A68: D1CB004B 84CC714B
	v_fma_f32 v76, v76, s56, -v51                              // 000000005A70: D1CB004C 84CC714C
	v_mfma_f32_32x32x8_bf16 v[132:147], a[192:193], v[84:85], v[132:147]// 000000005A78: D3E00084 0E12A9C0
	buffer_load_dword v168, v32, s[16:19], s35 offen           // 000000005A80: E0501000 2304A820
	v_fma_f32 v77, v77, s56, -v51                              // 000000005A88: D1CB004D 84CC714D
	v_fma_f32 v78, v78, s56, -v51                              // 000000005A90: D1CB004E 84CC714E
	v_fma_f32 v79, v79, s56, -v51                              // 000000005A98: D1CB004F 84CC714F
	v_fma_f32 v80, v80, s56, -v51                              // 000000005AA0: D1CB0050 84CC7150
	v_fma_f32 v81, v81, s56, -v51                              // 000000005AA8: D1CB0051 84CC7151
	v_fma_f32 v82, v82, s56, -v51                              // 000000005AB0: D1CB0052 84CC7152
	v_mfma_f32_32x32x8_bf16 v[132:147], a[194:195], v[86:87], v[132:147]// 000000005AB8: D3E00084 0E12ADC2
	v_fma_f32 v83, v83, s56, -v51                              // 000000005AC0: D1CB0053 84CC7153
	v_exp_f32_e32 v68, v68                                     // 000000005AC8: 7E884144
	v_exp_f32_e32 v69, v69                                     // 000000005ACC: 7E8A4145
	v_mfma_f32_32x32x8_bf16 v[132:147], a[196:197], v[88:89], v[132:147]// 000000005AD0: D3E00084 0E12B1C4
	buffer_load_dword v169, v33, s[16:19], s35 offen           // 000000005AD8: E0501000 2304A921
	ds_read_b128 a[160:163], v37 offset:26624                  // 000000005AE0: DBFE6800 A0000025
	ds_read_b128 a[164:167], v37 offset:28672                  // 000000005AE8: DBFE7000 A4000025
	ds_read_b128 a[168:171], v37 offset:26880                  // 000000005AF0: DBFE6900 A8000025
	ds_read_b128 a[172:175], v37 offset:28928                  // 000000005AF8: DBFE7100 AC000025
	v_mfma_f32_32x32x8_bf16 v[132:147], a[198:199], v[90:91], v[132:147]// 000000005B00: D3E00084 0E12B5C6
	v_exp_f32_e32 v70, v70                                     // 000000005B08: 7E8C4146
	v_exp_f32_e32 v71, v71                                     // 000000005B0C: 7E8E4147
	v_mfma_f32_32x32x8_bf16 v[148:163], a[200:201], v[84:85], v[148:163]// 000000005B10: D3E00094 0E52A9C8
	buffer_load_dword v170, v34, s[16:19], s35 offen           // 000000005B18: E0501000 2304AA22
	v_exp_f32_e32 v72, v72                                     // 000000005B20: 7E904148
	v_exp_f32_e32 v73, v73                                     // 000000005B24: 7E924149
	v_mfma_f32_32x32x8_bf16 v[148:163], a[202:203], v[86:87], v[148:163]// 000000005B28: D3E00094 0E52ADCA
	v_exp_f32_e32 v74, v74                                     // 000000005B30: 7E94414A
	v_exp_f32_e32 v75, v75                                     // 000000005B34: 7E96414B
	v_mfma_f32_32x32x8_bf16 v[148:163], a[204:205], v[88:89], v[148:163]// 000000005B38: D3E00094 0E52B1CC
	buffer_load_dword v171, v35, s[16:19], s35 offen           // 000000005B40: E0501000 2304AB23
	v_exp_f32_e32 v76, v76                                     // 000000005B48: 7E98414C
	v_exp_f32_e32 v77, v77                                     // 000000005B4C: 7E9A414D
	v_mfma_f32_32x32x8_bf16 v[148:163], a[206:207], v[90:91], v[148:163]// 000000005B50: D3E00094 0E52B5CE
	v_exp_f32_e32 v78, v78                                     // 000000005B58: 7E9C414E
	s_add_i32 s35, s44, s35                                    // 000000005B5C: 8123232C
	s_add_i32 s52, s52, s53                                    // 000000005B60: 81343534
	s_addk_i32 s39, 0x20                                       // 000000005B64: B7270020
	s_cmp_lt_i32 s39, s38                                      // 000000005B68: BF042627
	v_mov_b32_e32 v45, v44                                     // 000000005B6C: 7E5A032C
	v_mul_f32_e32 v128, v44, v128                              // 000000005B70: 0B01012C
	v_mul_f32_e32 v129, v44, v129                              // 000000005B74: 0B03032C
	v_pk_mul_f32 v[130:131], v[44:45], v[130:131]              // 000000005B78: D3B14082 1803052C
	v_pk_mul_f32 v[132:133], v[44:45], v[132:133]              // 000000005B80: D3B14084 1803092C
	v_pk_mul_f32 v[134:135], v[44:45], v[134:135]              // 000000005B88: D3B14086 18030D2C
	v_pk_mul_f32 v[136:137], v[44:45], v[136:137]              // 000000005B90: D3B14088 1803112C
	v_pk_mul_f32 v[138:139], v[44:45], v[138:139]              // 000000005B98: D3B1408A 1803152C
	v_pk_mul_f32 v[140:141], v[44:45], v[140:141]              // 000000005BA0: D3B1408C 1803192C
	v_pk_mul_f32 v[142:143], v[44:45], v[142:143]              // 000000005BA8: D3B1408E 18031D2C
	v_pk_mul_f32 v[144:145], v[44:45], v[144:145]              // 000000005BB0: D3B14090 1803212C
	v_pk_mul_f32 v[146:147], v[44:45], v[146:147]              // 000000005BB8: D3B14092 1803252C
	v_pk_mul_f32 v[148:149], v[44:45], v[148:149]              // 000000005BC0: D3B14094 1803292C
	v_pk_mul_f32 v[150:151], v[44:45], v[150:151]              // 000000005BC8: D3B14096 18032D2C
	v_pk_mul_f32 v[152:153], v[44:45], v[152:153]              // 000000005BD0: D3B14098 1803312C
	v_pk_mul_f32 v[154:155], v[44:45], v[154:155]              // 000000005BD8: D3B1409A 1803352C
	v_pk_mul_f32 v[156:157], v[44:45], v[156:157]              // 000000005BE0: D3B1409C 1803392C
	v_pk_mul_f32 v[158:159], v[44:45], v[158:159]              // 000000005BE8: D3B1409E 18033D2C
	v_pk_mul_f32 v[160:161], v[44:45], v[160:161]              // 000000005BF0: D3B140A0 1803412C
	v_pk_mul_f32 v[162:163], v[44:45], v[162:163]              // 000000005BF8: D3B140A2 1803452C
	s_cbranch_scc0 label_0F28                                  // 000000005C00: BF8404E7
	s_branch label_055D                                        // 000000005C04: BF82FB1B

0000000000005c08 <label_0A42>:
	s_nop 0                                                    // 000000005C08: BF800000

0000000000005c0c <label_0A43>:
	s_waitcnt vmcnt(8) lgkmcnt(8)                              // 000000005C0C: BF8C0878
	s_barrier                                                  // 000000005C10: BF8A0000
	v_mfma_f32_32x32x8_bf16 v[84:99], a[96:97], a[0:1], 0      // 000000005C14: D3E00054 1A020160
	v_exp_f32_e32 v79, v79                                     // 000000005C1C: 7E9E414F
	v_exp_f32_e32 v80, v80                                     // 000000005C20: 7EA04150
	v_mfma_f32_32x32x8_bf16 v[84:99], a[98:99], a[2:3], v[84:99]// 000000005C24: D3E00054 1D520562
	s_mov_b32 m0, s69                                          // 000000005C2C: BEFC0045
	buffer_load_dword v16, s[12:15], s60 offen lds             // 000000005C30: E0511000 3C030010
	ds_write_b128 v38, v[188:191] offset:34432                 // 000000005C38: D9BE8680 0000BC26
	v_mfma_f32_32x32x8_bf16 v[84:99], a[100:101], a[4:5], v[84:99]// 000000005C40: D3E00054 1D520964
	v_exp_f32_e32 v81, v81                                     // 000000005C48: 7EA24151
	v_exp_f32_e32 v82, v82                                     // 000000005C4C: 7EA44152
	v_mfma_f32_32x32x8_bf16 v[84:99], a[102:103], a[6:7], v[84:99]// 000000005C50: D3E00054 1D520D66
	s_add_u32 m0, 0x440, m0                                    // 000000005C58: 807C7CFF 00000440
	buffer_load_dword v17, s[12:15], s60 offen lds             // 000000005C60: E0511000 3C030011
	ds_write_b128 v38, v[192:195] offset:38592                 // 000000005C68: D9BE96C0 0000C026
	v_mfma_f32_32x32x8_bf16 v[84:99], a[104:105], a[8:9], v[84:99]// 000000005C70: D3E00054 1D521168
	v_exp_f32_e32 v83, v83                                     // 000000005C78: 7EA64153
	v_mul_f32_e32 v46, v44, v46                                // 000000005C7C: 0A5C5D2C
	v_add_f32_e32 v62, v69, v68                                // 000000005C80: 027C8945
	v_add_f32_e32 v62, v70, v62                                // 000000005C84: 027C7D46
	v_mfma_f32_32x32x8_bf16 v[84:99], a[106:107], a[10:11], v[84:99]// 000000005C88: D3E00054 1D52156A
	s_add_u32 m0, 0x440, m0                                    // 000000005C90: 807C7CFF 00000440
	buffer_load_dword v18, s[12:15], s60 offen lds             // 000000005C98: E0511000 3C030012
	ds_read_b128 a[48:51], v36                                 // 000000005CA0: DBFE0000 30000024
	ds_read_b128 a[52:55], v36 offset:32                       // 000000005CA8: DBFE0020 34000024
	v_add_f32_e32 v62, v71, v62                                // 000000005CB0: 027C7D47
	v_add_f32_e32 v62, v72, v62                                // 000000005CB4: 027C7D48
	v_mfma_f32_32x32x8_bf16 v[84:99], a[108:109], a[12:13], v[84:99]// 000000005CB8: D3E00054 1D52196C
	v_add_f32_e32 v62, v73, v62                                // 000000005CC0: 027C7D49
	v_add_f32_e32 v62, v74, v62                                // 000000005CC4: 027C7D4A
	v_add_f32_e32 v62, v75, v62                                // 000000005CC8: 027C7D4B
	v_add_f32_e32 v62, v76, v62                                // 000000005CCC: 027C7D4C
	v_add_f32_e32 v62, v77, v62                                // 000000005CD0: 027C7D4D
	v_add_f32_e32 v62, v78, v62                                // 000000005CD4: 027C7D4E
	v_add_f32_e32 v62, v79, v62                                // 000000005CD8: 027C7D4F
	v_mfma_f32_32x32x8_bf16 v[84:99], a[110:111], a[14:15], v[84:99]// 000000005CDC: D3E00054 1D521D6E
	s_add_u32 m0, 0x440, m0                                    // 000000005CE4: 807C7CFF 00000440
	buffer_load_dword v19, s[12:15], s60 offen lds             // 000000005CEC: E0511000 3C030013
	ds_read_b128 a[56:59], v36 offset:64                       // 000000005CF4: DBFE0040 38000024
	ds_read_b128 a[60:63], v36 offset:96                       // 000000005CFC: DBFE0060 3C000024
	v_add_f32_e32 v62, v80, v62                                // 000000005D04: 027C7D50
	v_add_f32_e32 v62, v81, v62                                // 000000005D08: 027C7D51
	v_mfma_f32_32x32x8_bf16 v[84:99], a[112:113], a[16:17], v[84:99]// 000000005D0C: D3E00054 1D522170
	v_add_f32_e32 v62, v82, v62                                // 000000005D14: 027C7D52
	v_add_f32_e32 v62, v83, v62                                // 000000005D18: 027C7D53
	v_add_f32_e32 v46, v62, v46                                // 000000005D1C: 025C5D3E
	v_mul_f32_e32 v100, v44, v100                              // 000000005D20: 0AC8C92C
	v_mul_f32_e32 v101, v44, v101                              // 000000005D24: 0ACACB2C
	v_mul_f32_e32 v102, v44, v102                              // 000000005D28: 0ACCCD2C
	v_mul_f32_e32 v103, v44, v103                              // 000000005D2C: 0ACECF2C
	v_mfma_f32_32x32x8_bf16 v[84:99], a[114:115], a[18:19], v[84:99]// 000000005D30: D3E00054 1D522572
	s_add_u32 m0, 0x440, m0                                    // 000000005D38: 807C7CFF 00000440
	buffer_load_dword v20, s[12:15], s60 offen lds             // 000000005D40: E0511000 3C030014
	ds_read_b128 a[64:67], v36 offset:4352                     // 000000005D48: DBFE1100 40000024
	ds_read_b128 a[68:71], v36 offset:4384                     // 000000005D50: DBFE1120 44000024
	v_mul_f32_e32 v104, v44, v104                              // 000000005D58: 0AD0D12C
	v_mul_f32_e32 v105, v44, v105                              // 000000005D5C: 0AD2D32C
	v_mfma_f32_32x32x8_bf16 v[84:99], a[116:117], a[20:21], v[84:99]// 000000005D60: D3E00054 1D522974
	v_mul_f32_e32 v106, v44, v106                              // 000000005D68: 0AD4D52C
	v_mul_f32_e32 v107, v44, v107                              // 000000005D6C: 0AD6D72C
	v_mul_f32_e32 v108, v44, v108                              // 000000005D70: 0AD8D92C
	v_mul_f32_e32 v109, v44, v109                              // 000000005D74: 0ADADB2C
	v_mul_f32_e32 v110, v44, v110                              // 000000005D78: 0ADCDD2C
	v_mul_f32_e32 v111, v44, v111                              // 000000005D7C: 0ADEDF2C
	v_mul_f32_e32 v112, v44, v112                              // 000000005D80: 0AE0E12C
	v_mfma_f32_32x32x8_bf16 v[84:99], a[118:119], a[22:23], v[84:99]// 000000005D84: D3E00054 1D522D76
	s_add_u32 m0, 0x440, m0                                    // 000000005D8C: 807C7CFF 00000440
	buffer_load_dword v21, s[12:15], s60 offen lds             // 000000005D94: E0511000 3C030015
	ds_read_b128 a[72:75], v36 offset:4416                     // 000000005D9C: DBFE1140 48000024
	ds_read_b128 a[76:79], v36 offset:4448                     // 000000005DA4: DBFE1160 4C000024
	v_mul_f32_e32 v113, v44, v113                              // 000000005DAC: 0AE2E32C
	v_mul_f32_e32 v114, v44, v114                              // 000000005DB0: 0AE4E52C
	v_mfma_f32_32x32x8_bf16 v[84:99], a[120:121], a[24:25], v[84:99]// 000000005DB4: D3E00054 1D523178
	v_mul_f32_e32 v115, v44, v115                              // 000000005DBC: 0AE6E72C
	v_mul_f32_e32 v116, v44, v116                              // 000000005DC0: 0AE8E92C
	v_mul_f32_e32 v117, v44, v117                              // 000000005DC4: 0AEAEB2C
	v_mul_f32_e32 v118, v44, v118                              // 000000005DC8: 0AECED2C
	v_mul_f32_e32 v119, v44, v119                              // 000000005DCC: 0AEEEF2C
	v_mul_f32_e32 v120, v44, v120                              // 000000005DD0: 0AF0F12C
	v_mul_f32_e32 v121, v44, v121                              // 000000005DD4: 0AF2F32C
	v_mfma_f32_32x32x8_bf16 v[84:99], a[122:123], a[26:27], v[84:99]// 000000005DD8: D3E00054 1D52357A
	s_add_u32 m0, 0x440, m0                                    // 000000005DE0: 807C7CFF 00000440
	buffer_load_dword v22, s[12:15], s60 offen lds             // 000000005DE8: E0511000 3C030016
	ds_read_b128 a[80:83], v36 offset:8704                     // 000000005DF0: DBFE2200 50000024
	ds_read_b128 a[84:87], v36 offset:8736                     // 000000005DF8: DBFE2220 54000024
	v_mul_f32_e32 v122, v44, v122                              // 000000005E00: 0AF4F52C
	v_mul_f32_e32 v123, v44, v123                              // 000000005E04: 0AF6F72C
	v_mfma_f32_32x32x8_bf16 v[84:99], a[124:125], a[28:29], v[84:99]// 000000005E08: D3E00054 1D52397C
	v_mul_f32_e32 v124, v44, v124                              // 000000005E10: 0AF8F92C
	v_mul_f32_e32 v125, v44, v125                              // 000000005E14: 0AFAFB2C
	v_mul_f32_e32 v126, v44, v126                              // 000000005E18: 0AFCFD2C
	v_mul_f32_e32 v127, v44, v127                              // 000000005E1C: 0AFEFF2C
	v_mfma_f32_32x32x8_bf16 v[84:99], a[126:127], a[30:31], v[84:99]// 000000005E20: D3E00054 1D523D7E
	s_add_u32 m0, 0x440, m0                                    // 000000005E28: 807C7CFF 00000440
	buffer_load_dword v23, s[12:15], s60 offen lds             // 000000005E30: E0511000 3C030017
	ds_read_b128 a[88:91], v36 offset:8768                     // 000000005E38: DBFE2240 58000024
	ds_read_b128 a[92:95], v36 offset:8800                     // 000000005E40: DBFE2260 5C000024
	v_cmp_u_f32_e64 s[70:71], v68, v68                         // 000000005E48: D0480046 00028944
	v_add3_u32 v64, v68, v67, 1                                // 000000005E50: D1FF0040 02068744
	v_cndmask_b32_e64 v40, v64, v66, s[70:71]                  // 000000005E58: D1000028 011A8540
	v_cmp_u_f32_e64 s[70:71], v69, v69                         // 000000005E60: D0480046 00028B45
	v_add3_u32 v64, v69, v67, 1                                // 000000005E68: D1FF0040 02068745
	v_cndmask_b32_e64 v41, v64, v66, s[70:71]                  // 000000005E70: D1000029 011A8540
	v_perm_b32 v68, v41, v40, s49                              // 000000005E78: D1ED0044 00C65129
	v_mfma_f32_32x32x8_bf16 v[84:99], a[128:129], a[32:33], v[84:99]// 000000005E80: D3E00054 1D524180
	v_cmp_u_f32_e64 s[70:71], v70, v70                         // 000000005E88: D0480046 00028D46
	v_add3_u32 v64, v70, v67, 1                                // 000000005E90: D1FF0040 02068746
	v_cndmask_b32_e64 v40, v64, v66, s[70:71]                  // 000000005E98: D1000028 011A8540
	v_cmp_u_f32_e64 s[70:71], v71, v71                         // 000000005EA0: D0480046 00028F47
	v_add3_u32 v64, v71, v67, 1                                // 000000005EA8: D1FF0040 02068747
	v_cndmask_b32_e64 v41, v64, v66, s[70:71]                  // 000000005EB0: D1000029 011A8540
	v_perm_b32 v69, v41, v40, s49                              // 000000005EB8: D1ED0045 00C65129
	v_mfma_f32_32x32x8_bf16 v[84:99], a[130:131], a[34:35], v[84:99]// 000000005EC0: D3E00054 1D524582
	s_add_u32 m0, 0x440, m0                                    // 000000005EC8: 807C7CFF 00000440
	buffer_load_dword v24, s[12:15], s60 offen lds             // 000000005ED0: E0511000 3C030018
	v_cmp_u_f32_e64 s[70:71], v72, v72                         // 000000005ED8: D0480046 00029148
	v_add3_u32 v64, v72, v67, 1                                // 000000005EE0: D1FF0040 02068748
	v_cndmask_b32_e64 v40, v64, v66, s[70:71]                  // 000000005EE8: D1000028 011A8540
	v_cmp_u_f32_e64 s[70:71], v73, v73                         // 000000005EF0: D0480046 00029349
	v_add3_u32 v64, v73, v67, 1                                // 000000005EF8: D1FF0040 02068749
	v_cndmask_b32_e64 v41, v64, v66, s[70:71]                  // 000000005F00: D1000029 011A8540
	v_perm_b32 v70, v41, v40, s49                              // 000000005F08: D1ED0046 00C65129
	v_mfma_f32_32x32x8_bf16 v[84:99], a[132:133], a[36:37], v[84:99]// 000000005F10: D3E00054 1D524984
	v_cmp_u_f32_e64 s[70:71], v74, v74                         // 000000005F18: D0480046 0002954A
	v_add3_u32 v64, v74, v67, 1                                // 000000005F20: D1FF0040 0206874A
	v_cndmask_b32_e64 v40, v64, v66, s[70:71]                  // 000000005F28: D1000028 011A8540
	v_cmp_u_f32_e64 s[70:71], v75, v75                         // 000000005F30: D0480046 0002974B
	v_add3_u32 v64, v75, v67, 1                                // 000000005F38: D1FF0040 0206874B
	v_cndmask_b32_e64 v41, v64, v66, s[70:71]                  // 000000005F40: D1000029 011A8540
	v_perm_b32 v71, v41, v40, s49                              // 000000005F48: D1ED0047 00C65129
	v_mfma_f32_32x32x8_bf16 v[84:99], a[134:135], a[38:39], v[84:99]// 000000005F50: D3E00054 1D524D86
	s_add_u32 m0, 0x440, m0                                    // 000000005F58: 807C7CFF 00000440
	buffer_load_dword v25, s[12:15], s60 offen lds             // 000000005F60: E0511000 3C030019
	v_cmp_u_f32_e64 s[70:71], v76, v76                         // 000000005F68: D0480046 0002994C
	v_add3_u32 v64, v76, v67, 1                                // 000000005F70: D1FF0040 0206874C
	v_cndmask_b32_e64 v40, v64, v66, s[70:71]                  // 000000005F78: D1000028 011A8540
	v_cmp_u_f32_e64 s[70:71], v77, v77                         // 000000005F80: D0480046 00029B4D
	v_add3_u32 v64, v77, v67, 1                                // 000000005F88: D1FF0040 0206874D
	v_cndmask_b32_e64 v41, v64, v66, s[70:71]                  // 000000005F90: D1000029 011A8540
	v_perm_b32 v72, v41, v40, s49                              // 000000005F98: D1ED0048 00C65129
	v_mfma_f32_32x32x8_bf16 v[84:99], a[136:137], a[40:41], v[84:99]// 000000005FA0: D3E00054 1D525188
	v_cmp_u_f32_e64 s[70:71], v78, v78                         // 000000005FA8: D0480046 00029D4E
	v_add3_u32 v64, v78, v67, 1                                // 000000005FB0: D1FF0040 0206874E
	v_cndmask_b32_e64 v40, v64, v66, s[70:71]                  // 000000005FB8: D1000028 011A8540
	v_cmp_u_f32_e64 s[70:71], v79, v79                         // 000000005FC0: D0480046 00029F4F
	v_add3_u32 v64, v79, v67, 1                                // 000000005FC8: D1FF0040 0206874F
	v_cndmask_b32_e64 v41, v64, v66, s[70:71]                  // 000000005FD0: D1000029 011A8540
	v_perm_b32 v73, v41, v40, s49                              // 000000005FD8: D1ED0049 00C65129
	v_mfma_f32_32x32x8_bf16 v[84:99], a[138:139], a[42:43], v[84:99]// 000000005FE0: D3E00054 1D52558A
	s_add_u32 m0, 0x440, m0                                    // 000000005FE8: 807C7CFF 00000440
	buffer_load_dword v26, s[12:15], s60 offen lds             // 000000005FF0: E0511000 3C03001A
	v_cmp_u_f32_e64 s[70:71], v80, v80                         // 000000005FF8: D0480046 0002A150
	v_add3_u32 v64, v80, v67, 1                                // 000000006000: D1FF0040 02068750
	v_cndmask_b32_e64 v40, v64, v66, s[70:71]                  // 000000006008: D1000028 011A8540
	v_cmp_u_f32_e64 s[70:71], v81, v81                         // 000000006010: D0480046 0002A351
	v_add3_u32 v64, v81, v67, 1                                // 000000006018: D1FF0040 02068751
	v_cndmask_b32_e64 v41, v64, v66, s[70:71]                  // 000000006020: D1000029 011A8540
	v_perm_b32 v74, v41, v40, s49                              // 000000006028: D1ED004A 00C65129
	v_mfma_f32_32x32x8_bf16 v[84:99], a[140:141], a[44:45], v[84:99]// 000000006030: D3E00054 1D52598C
	v_cmp_u_f32_e64 s[70:71], v82, v82                         // 000000006038: D0480046 0002A552
	v_add3_u32 v64, v82, v67, 1                                // 000000006040: D1FF0040 02068752
	v_cndmask_b32_e64 v40, v64, v66, s[70:71]                  // 000000006048: D1000028 011A8540
	v_cmp_u_f32_e64 s[70:71], v83, v83                         // 000000006050: D0480046 0002A753
	v_add3_u32 v64, v83, v67, 1                                // 000000006058: D1FF0040 02068753
	v_cndmask_b32_e64 v41, v64, v66, s[70:71]                  // 000000006060: D1000029 011A8540
	v_perm_b32 v75, v41, v40, s49                              // 000000006068: D1ED004B 00C65129
	v_mfma_f32_32x32x8_bf16 v[84:99], a[142:143], a[46:47], v[84:99]// 000000006070: D3E00054 1D525D8E
	s_add_u32 m0, 0x440, m0                                    // 000000006078: 807C7CFF 00000440
	buffer_load_dword v27, s[12:15], s60 offen lds             // 000000006080: E0511000 3C03001B
	s_add_i32 s60, s43, s60                                    // 000000006088: 813C3C2B
	s_cmp_lt_i32 s52, s51                                      // 00000000608C: BF043334
	s_cbranch_scc1 label_0BF2                                  // 000000006090: BF85008D
	s_nop 0                                                    // 000000006094: BF800000
	s_sub_i32 s40, s51, s52                                    // 000000006098: 81A83433
	s_sub_i32 s41, s7, s30                                     // 00000000609C: 81A91E07
	s_and_b32 s41, s41, 31                                     // 0000000060A0: 86299F29
	s_add_i32 s40, s40, s41                                    // 0000000060A4: 81282928
	v_add_i32 v40, v53, s40                                    // 0000000060A8: D29C0028 00005135
	v_cmp_lt_i32_e64 s[72:73], v40, 0                          // 0000000060B0: D0C10048 00010128
	v_cmp_lt_i32_e64 s[74:75], v40, 1                          // 0000000060B8: D0C1004A 00010328
	v_cndmask_b32_e64 v84, v84, v55, s[72:73]                  // 0000000060C0: D1000054 01226F54
	v_cndmask_b32_e64 v85, v85, v55, s[74:75]                  // 0000000060C8: D1000055 012A6F55
	v_cmp_lt_i32_e64 s[72:73], v40, 2                          // 0000000060D0: D0C10048 00010528
	v_cmp_lt_i32_e64 s[74:75], v40, 3                          // 0000000060D8: D0C1004A 00010728
	v_cndmask_b32_e64 v86, v86, v55, s[72:73]                  // 0000000060E0: D1000056 01226F56
	v_cndmask_b32_e64 v87, v87, v55, s[74:75]                  // 0000000060E8: D1000057 012A6F57
	v_cmp_lt_i32_e64 s[72:73], v40, 8                          // 0000000060F0: D0C10048 00011128
	v_cmp_lt_i32_e64 s[74:75], v40, 9                          // 0000000060F8: D0C1004A 00011328
	v_cndmask_b32_e64 v88, v88, v55, s[72:73]                  // 000000006100: D1000058 01226F58
	v_cndmask_b32_e64 v89, v89, v55, s[74:75]                  // 000000006108: D1000059 012A6F59
	v_cmp_lt_i32_e64 s[72:73], v40, 10                         // 000000006110: D0C10048 00011528
	v_cmp_lt_i32_e64 s[74:75], v40, 11                         // 000000006118: D0C1004A 00011728
	v_cndmask_b32_e64 v90, v90, v55, s[72:73]                  // 000000006120: D100005A 01226F5A
	v_cndmask_b32_e64 v91, v91, v55, s[74:75]                  // 000000006128: D100005B 012A6F5B
	v_cmp_lt_i32_e64 s[72:73], v40, 16                         // 000000006130: D0C10048 00012128
	v_cmp_lt_i32_e64 s[74:75], v40, 17                         // 000000006138: D0C1004A 00012328
	v_cndmask_b32_e64 v92, v92, v55, s[72:73]                  // 000000006140: D100005C 01226F5C
	v_cndmask_b32_e64 v93, v93, v55, s[74:75]                  // 000000006148: D100005D 012A6F5D
	v_cmp_lt_i32_e64 s[72:73], v40, 18                         // 000000006150: D0C10048 00012528
	v_cmp_lt_i32_e64 s[74:75], v40, 19                         // 000000006158: D0C1004A 00012728
	v_cndmask_b32_e64 v94, v94, v55, s[72:73]                  // 000000006160: D100005E 01226F5E
	v_cndmask_b32_e64 v95, v95, v55, s[74:75]                  // 000000006168: D100005F 012A6F5F
	v_cmp_lt_i32_e64 s[72:73], v40, 24                         // 000000006170: D0C10048 00013128
	v_cmp_lt_i32_e64 s[74:75], v40, 25                         // 000000006178: D0C1004A 00013328
	v_cndmask_b32_e64 v96, v96, v55, s[72:73]                  // 000000006180: D1000060 01226F60
	v_cndmask_b32_e64 v97, v97, v55, s[74:75]                  // 000000006188: D1000061 012A6F61
	v_cmp_lt_i32_e64 s[72:73], v40, 26                         // 000000006190: D0C10048 00013528
	v_cmp_lt_i32_e64 s[74:75], v40, 27                         // 000000006198: D0C1004A 00013728
	v_cndmask_b32_e64 v98, v98, v55, s[72:73]                  // 0000000061A0: D1000062 01226F62
	v_cndmask_b32_e64 v99, v99, v55, s[74:75]                  // 0000000061A8: D1000063 012A6F63
	s_nop 0                                                    // 0000000061B0: BF800000
	s_cmp_lt_i32 s52, s54                                      // 0000000061B4: BF043634
	s_cbranch_scc1 label_0BF2                                  // 0000000061B8: BF850043
	s_sub_i32 s40, s7, s52                                     // 0000000061BC: 81A83407
	v_sub_i32 v40, s40, v54                                    // 0000000061C0: D29D0028 00026C28
	v_cmp_lt_i32_e64 s[72:73], 0, v40                          // 0000000061C8: D0C10048 00025080
	v_cmp_lt_i32_e64 s[74:75], 1, v40                          // 0000000061D0: D0C1004A 00025081
	v_cndmask_b32_e64 v84, v55, v84, s[72:73]                  // 0000000061D8: D1000054 0122A937
	v_cndmask_b32_e64 v85, v55, v85, s[74:75]                  // 0000000061E0: D1000055 012AAB37
	v_cmp_lt_i32_e64 s[72:73], 2, v40                          // 0000000061E8: D0C10048 00025082
	v_cmp_lt_i32_e64 s[74:75], 3, v40                          // 0000000061F0: D0C1004A 00025083
	v_cndmask_b32_e64 v86, v55, v86, s[72:73]                  // 0000000061F8: D1000056 0122AD37
	v_cndmask_b32_e64 v87, v55, v87, s[74:75]                  // 000000006200: D1000057 012AAF37
	v_cmp_lt_i32_e64 s[72:73], 8, v40                          // 000000006208: D0C10048 00025088
	v_cmp_lt_i32_e64 s[74:75], 9, v40                          // 000000006210: D0C1004A 00025089
	v_cndmask_b32_e64 v88, v55, v88, s[72:73]                  // 000000006218: D1000058 0122B137
	v_cndmask_b32_e64 v89, v55, v89, s[74:75]                  // 000000006220: D1000059 012AB337
	v_cmp_lt_i32_e64 s[72:73], 10, v40                         // 000000006228: D0C10048 0002508A
	v_cmp_lt_i32_e64 s[74:75], 11, v40                         // 000000006230: D0C1004A 0002508B
	v_cndmask_b32_e64 v90, v55, v90, s[72:73]                  // 000000006238: D100005A 0122B537
	v_cndmask_b32_e64 v91, v55, v91, s[74:75]                  // 000000006240: D100005B 012AB737
	v_cmp_lt_i32_e64 s[72:73], 16, v40                         // 000000006248: D0C10048 00025090
	v_cmp_lt_i32_e64 s[74:75], 17, v40                         // 000000006250: D0C1004A 00025091
	v_cndmask_b32_e64 v92, v55, v92, s[72:73]                  // 000000006258: D100005C 0122B937
	v_cndmask_b32_e64 v93, v55, v93, s[74:75]                  // 000000006260: D100005D 012ABB37
	v_cmp_lt_i32_e64 s[72:73], 18, v40                         // 000000006268: D0C10048 00025092
	v_cmp_lt_i32_e64 s[74:75], 19, v40                         // 000000006270: D0C1004A 00025093
	v_cndmask_b32_e64 v94, v55, v94, s[72:73]                  // 000000006278: D100005E 0122BD37
	v_cndmask_b32_e64 v95, v55, v95, s[74:75]                  // 000000006280: D100005F 012ABF37
	v_cmp_lt_i32_e64 s[72:73], 24, v40                         // 000000006288: D0C10048 00025098
	v_cmp_lt_i32_e64 s[74:75], 25, v40                         // 000000006290: D0C1004A 00025099
	v_cndmask_b32_e64 v96, v55, v96, s[72:73]                  // 000000006298: D1000060 0122C137
	v_cndmask_b32_e64 v97, v55, v97, s[74:75]                  // 0000000062A0: D1000061 012AC337
	v_cmp_lt_i32_e64 s[72:73], 26, v40                         // 0000000062A8: D0C10048 0002509A
	v_cmp_lt_i32_e64 s[74:75], 27, v40                         // 0000000062B0: D0C1004A 0002509B
	v_cndmask_b32_e64 v98, v55, v98, s[72:73]                  // 0000000062B8: D1000062 0122C537
	v_cndmask_b32_e64 v99, v55, v99, s[74:75]                  // 0000000062C0: D1000063 012AC737

00000000000062c8 <label_0BF2>:
	s_waitcnt vmcnt(12) lgkmcnt(12)                            // 0000000062C8: BF8C0C7C
	s_barrier                                                  // 0000000062CC: BF8A0000
	v_mfma_f32_32x32x8_bf16 v[100:115], a[144:145], v[68:69], v[100:115]// 0000000062D0: D3E00064 0D928990
	v_max3_f32 v49, v84, v85, v52                              // 0000000062D8: D1D30031 04D2AB54
	v_max3_f32 v49, v86, v87, v49                              // 0000000062E0: D1D30031 04C6AF56
	v_max3_f32 v49, v88, v89, v49                              // 0000000062E8: D1D30031 04C6B358
	v_max3_f32 v49, v90, v91, v49                              // 0000000062F0: D1D30031 04C6B75A
	v_max3_f32 v49, v92, v93, v49                              // 0000000062F8: D1D30031 04C6BB5C
	v_max3_f32 v49, v94, v95, v49                              // 000000006300: D1D30031 04C6BF5E
	v_max3_f32 v49, v96, v97, v49                              // 000000006308: D1D30031 04C6C360
	v_mfma_f32_32x32x8_bf16 v[100:115], a[146:147], v[70:71], v[100:115]// 000000006310: D3E00064 0D928D92
	buffer_load_dword v172, v28, s[16:19], s35 offen           // 000000006318: E0501000 2304AC1C
	v_max3_f32 v49, v98, v99, v49                              // 000000006320: D1D30031 04C6C762
	ds_permute_b32 v48, v56, v49                               // 000000006328: D87C0000 30003138
	v_mfma_f32_32x32x8_bf16 v[100:115], a[148:149], v[72:73], v[100:115]// 000000006330: D3E00064 0D929194
	v_perm_b32 v180, v165, v164, s50                           // 000000006338: D1ED00B4 00CB49A5
	v_perm_b32 v184, v165, v164, s49                           // 000000006340: D1ED00B8 00C749A5
	v_perm_b32 v181, v167, v166, s50                           // 000000006348: D1ED00B5 00CB4DA7
	v_perm_b32 v185, v167, v166, s49                           // 000000006350: D1ED00B9 00C74DA7
	v_nop                                                      // 000000006358: 7E000000
	s_nop 0                                                    // 00000000635C: BF800000
	v_mfma_f32_32x32x8_bf16 v[100:115], a[150:151], v[74:75], v[100:115]// 000000006360: D3E00064 0D929596
	buffer_load_dword v173, v29, s[16:19], s35 offen           // 000000006368: E0501000 2304AD1D
	v_perm_b32 v182, v169, v168, s50                           // 000000006370: D1ED00B6 00CB51A9
	v_perm_b32 v186, v169, v168, s49                           // 000000006378: D1ED00BA 00C751A9
	v_perm_b32 v183, v171, v170, s50                           // 000000006380: D1ED00B7 00CB55AB
	v_perm_b32 v187, v171, v170, s49                           // 000000006388: D1ED00BB 00C755AB
	v_nop                                                      // 000000006390: 7E000000
	v_mfma_f32_32x32x8_bf16 v[116:131], a[152:153], v[68:69], v[116:131]// 000000006394: D3E00074 0DD28998
	s_waitcnt lgkmcnt(0)                                       // 00000000639C: BF8CC07F
	v_max_f32_e32 v49, v48, v49                                // 0000000063A0: 16626330
	v_sub_f32_e32 v44, v52, v49                                // 0000000063A4: 04586334
	v_mov_b32_e32 v52, v49                                     // 0000000063A8: 7E680331
	v_mul_f32_e32 v51, s56, v49                                // 0000000063AC: 0A666238
	v_mul_f32_e32 v44, s56, v44                                // 0000000063B0: 0A585838
	v_mfma_f32_32x32x8_bf16 v[116:131], a[154:155], v[70:71], v[116:131]// 0000000063B4: D3E00074 0DD28D9A
	buffer_load_dword v174, v30, s[16:19], s35 offen           // 0000000063BC: E0501000 2304AE1E
	v_exp_f32_e32 v44, v44                                     // 0000000063C4: 7E58412C
	v_fma_f32 v84, v84, s56, -v51                              // 0000000063C8: D1CB0054 84CC7154
	v_fma_f32 v85, v85, s56, -v51                              // 0000000063D0: D1CB0055 84CC7155
	v_mfma_f32_32x32x8_bf16 v[116:131], a[156:157], v[72:73], v[116:131]// 0000000063D8: D3E00074 0DD2919C
	v_fma_f32 v86, v86, s56, -v51                              // 0000000063E0: D1CB0056 84CC7156
	v_fma_f32 v87, v87, s56, -v51                              // 0000000063E8: D1CB0057 84CC7157
	v_fma_f32 v88, v88, s56, -v51                              // 0000000063F0: D1CB0058 84CC7158
	v_fma_f32 v89, v89, s56, -v51                              // 0000000063F8: D1CB0059 84CC7159
	v_fma_f32 v90, v90, s56, -v51                              // 000000006400: D1CB005A 84CC715A
	v_fma_f32 v91, v91, s56, -v51                              // 000000006408: D1CB005B 84CC715B
	v_fma_f32 v92, v92, s56, -v51                              // 000000006410: D1CB005C 84CC715C
	v_mfma_f32_32x32x8_bf16 v[116:131], a[158:159], v[74:75], v[116:131]// 000000006418: D3E00074 0DD2959E
	buffer_load_dword v175, v31, s[16:19], s35 offen           // 000000006420: E0501000 2304AF1F
	ds_read_b128 a[176:179], v37 offset:34432                  // 000000006428: DBFE8680 B0000025
	ds_read_b128 a[180:183], v37 offset:36480                  // 000000006430: DBFE8E80 B4000025
	ds_read_b128 a[184:187], v37 offset:34688                  // 000000006438: DBFE8780 B8000025
	ds_read_b128 a[188:191], v37 offset:36736                  // 000000006440: DBFE8F80 BC000025
	v_mfma_f32_32x32x8_bf16 v[132:147], a[160:161], v[68:69], v[132:147]// 000000006448: D3E00084 0E1289A0
	v_fma_f32 v93, v93, s56, -v51                              // 000000006450: D1CB005D 84CC715D
	v_fma_f32 v94, v94, s56, -v51                              // 000000006458: D1CB005E 84CC715E
	v_fma_f32 v95, v95, s56, -v51                              // 000000006460: D1CB005F 84CC715F
	v_fma_f32 v96, v96, s56, -v51                              // 000000006468: D1CB0060 84CC7160
	v_fma_f32 v97, v97, s56, -v51                              // 000000006470: D1CB0061 84CC7161
	v_fma_f32 v98, v98, s56, -v51                              // 000000006478: D1CB0062 84CC7162
	v_fma_f32 v99, v99, s56, -v51                              // 000000006480: D1CB0063 84CC7163
	v_mfma_f32_32x32x8_bf16 v[132:147], a[162:163], v[70:71], v[132:147]// 000000006488: D3E00084 0E128DA2
	buffer_load_dword v176, v32, s[16:19], s35 offen           // 000000006490: E0501000 2304B020
	v_exp_f32_e32 v84, v84                                     // 000000006498: 7EA84154
	v_exp_f32_e32 v85, v85                                     // 00000000649C: 7EAA4155
	v_mfma_f32_32x32x8_bf16 v[132:147], a[164:165], v[72:73], v[132:147]// 0000000064A0: D3E00084 0E1291A4
	v_exp_f32_e32 v86, v86                                     // 0000000064A8: 7EAC4156
	v_exp_f32_e32 v87, v87                                     // 0000000064AC: 7EAE4157
	v_mfma_f32_32x32x8_bf16 v[132:147], a[166:167], v[74:75], v[132:147]// 0000000064B0: D3E00084 0E1295A6
	buffer_load_dword v177, v33, s[16:19], s35 offen           // 0000000064B8: E0501000 2304B121
	ds_read_b128 a[192:195], v37 offset:34944                  // 0000000064C0: DBFE8880 C0000025
	ds_read_b128 a[196:199], v37 offset:36992                  // 0000000064C8: DBFE9080 C4000025
	ds_read_b128 a[200:203], v37 offset:35200                  // 0000000064D0: DBFE8980 C8000025
	ds_read_b128 a[204:207], v37 offset:37248                  // 0000000064D8: DBFE9180 CC000025
	v_mfma_f32_32x32x8_bf16 v[148:163], a[168:169], v[68:69], v[148:163]// 0000000064E0: D3E00094 0E5289A8
	v_exp_f32_e32 v88, v88                                     // 0000000064E8: 7EB04158
	v_exp_f32_e32 v89, v89                                     // 0000000064EC: 7EB24159
	v_mfma_f32_32x32x8_bf16 v[148:163], a[170:171], v[70:71], v[148:163]// 0000000064F0: D3E00094 0E528DAA
	buffer_load_dword v178, v34, s[16:19], s35 offen           // 0000000064F8: E0501000 2304B222
	v_exp_f32_e32 v90, v90                                     // 000000006500: 7EB4415A
	v_exp_f32_e32 v91, v91                                     // 000000006504: 7EB6415B
	v_mfma_f32_32x32x8_bf16 v[148:163], a[172:173], v[72:73], v[148:163]// 000000006508: D3E00094 0E5291AC
	v_exp_f32_e32 v92, v92                                     // 000000006510: 7EB8415C
	v_exp_f32_e32 v93, v93                                     // 000000006514: 7EBA415D
	v_mfma_f32_32x32x8_bf16 v[148:163], a[174:175], v[74:75], v[148:163]// 000000006518: D3E00094 0E5295AE
	buffer_load_dword v179, v35, s[16:19], s35 offen           // 000000006520: E0501000 2304B323
	v_exp_f32_e32 v94, v94                                     // 000000006528: 7EBC415E
	s_add_i32 s35, s44, s35                                    // 00000000652C: 8123232C
	s_add_i32 s52, s52, s53                                    // 000000006530: 81343534
	s_addk_i32 s39, 0x20                                       // 000000006534: B7270020
	s_cmp_lt_i32 s39, s38                                      // 000000006538: BF042627
	v_mov_b32_e32 v45, v44                                     // 00000000653C: 7E5A032C
	v_mul_f32_e32 v128, v44, v128                              // 000000006540: 0B01012C
	v_mul_f32_e32 v129, v44, v129                              // 000000006544: 0B03032C
	v_pk_mul_f32 v[130:131], v[44:45], v[130:131]              // 000000006548: D3B14082 1803052C
	v_pk_mul_f32 v[132:133], v[44:45], v[132:133]              // 000000006550: D3B14084 1803092C
	v_pk_mul_f32 v[134:135], v[44:45], v[134:135]              // 000000006558: D3B14086 18030D2C
	v_pk_mul_f32 v[136:137], v[44:45], v[136:137]              // 000000006560: D3B14088 1803112C
	v_pk_mul_f32 v[138:139], v[44:45], v[138:139]              // 000000006568: D3B1408A 1803152C
	v_pk_mul_f32 v[140:141], v[44:45], v[140:141]              // 000000006570: D3B1408C 1803192C
	v_pk_mul_f32 v[142:143], v[44:45], v[142:143]              // 000000006578: D3B1408E 18031D2C
	v_pk_mul_f32 v[144:145], v[44:45], v[144:145]              // 000000006580: D3B14090 1803212C
	v_pk_mul_f32 v[146:147], v[44:45], v[146:147]              // 000000006588: D3B14092 1803252C
	v_pk_mul_f32 v[148:149], v[44:45], v[148:149]              // 000000006590: D3B14094 1803292C
	v_pk_mul_f32 v[150:151], v[44:45], v[150:151]              // 000000006598: D3B14096 18032D2C
	v_pk_mul_f32 v[152:153], v[44:45], v[152:153]              // 0000000065A0: D3B14098 1803312C
	v_pk_mul_f32 v[154:155], v[44:45], v[154:155]              // 0000000065A8: D3B1409A 1803352C
	v_pk_mul_f32 v[156:157], v[44:45], v[156:157]              // 0000000065B0: D3B1409C 1803392C
	v_pk_mul_f32 v[158:159], v[44:45], v[158:159]              // 0000000065B8: D3B1409E 18033D2C
	v_pk_mul_f32 v[160:161], v[44:45], v[160:161]              // 0000000065C0: D3B140A0 1803412C
	v_pk_mul_f32 v[162:163], v[44:45], v[162:163]              // 0000000065C8: D3B140A2 1803452C
	s_cbranch_scc0 label_0F28                                  // 0000000065D0: BF840273
	s_waitcnt vmcnt(8) lgkmcnt(8)                              // 0000000065D4: BF8C0878
	s_barrier                                                  // 0000000065D8: BF8A0000
	v_mfma_f32_32x32x8_bf16 v[68:83], a[48:49], a[0:1], 0      // 0000000065DC: D3E00044 1A020130
	v_exp_f32_e32 v95, v95                                     // 0000000065E4: 7EBE415F
	v_exp_f32_e32 v96, v96                                     // 0000000065E8: 7EC04160
	v_mfma_f32_32x32x8_bf16 v[68:83], a[50:51], a[2:3], v[68:83]// 0000000065EC: D3E00044 1D120532
	s_mov_b32 m0, s68                                          // 0000000065F4: BEFC0044
	buffer_load_dword v16, s[12:15], s60 offen lds             // 0000000065F8: E0511000 3C030010
	ds_write_b128 v38, v[180:183] offset:26112                 // 000000006600: D9BE6600 0000B426
	v_mfma_f32_32x32x8_bf16 v[68:83], a[52:53], a[4:5], v[68:83]// 000000006608: D3E00044 1D120934
	v_exp_f32_e32 v97, v97                                     // 000000006610: 7EC24161
	v_exp_f32_e32 v98, v98                                     // 000000006614: 7EC44162
	v_mfma_f32_32x32x8_bf16 v[68:83], a[54:55], a[6:7], v[68:83]// 000000006618: D3E00044 1D120D36
	s_add_u32 m0, 0x440, m0                                    // 000000006620: 807C7CFF 00000440
	buffer_load_dword v17, s[12:15], s60 offen lds             // 000000006628: E0511000 3C030011
	ds_write_b128 v38, v[184:187] offset:30272                 // 000000006630: D9BE7640 0000B826
	v_mfma_f32_32x32x8_bf16 v[68:83], a[56:57], a[8:9], v[68:83]// 000000006638: D3E00044 1D121138
	v_exp_f32_e32 v99, v99                                     // 000000006640: 7EC64163
	v_mul_f32_e32 v46, v44, v46                                // 000000006644: 0A5C5D2C
	v_add_f32_e32 v62, v85, v84                                // 000000006648: 027CA955
	v_add_f32_e32 v62, v86, v62                                // 00000000664C: 027C7D56
	v_mfma_f32_32x32x8_bf16 v[68:83], a[58:59], a[10:11], v[68:83]// 000000006650: D3E00044 1D12153A
	s_add_u32 m0, 0x440, m0                                    // 000000006658: 807C7CFF 00000440
	buffer_load_dword v18, s[12:15], s60 offen lds             // 000000006660: E0511000 3C030012
	ds_read_b128 a[96:99], v36 offset:13056                    // 000000006668: DBFE3300 60000024
	ds_read_b128 a[100:103], v36 offset:13088                  // 000000006670: DBFE3320 64000024
	v_add_f32_e32 v62, v87, v62                                // 000000006678: 027C7D57
	v_add_f32_e32 v62, v88, v62                                // 00000000667C: 027C7D58
	v_mfma_f32_32x32x8_bf16 v[68:83], a[60:61], a[12:13], v[68:83]// 000000006680: D3E00044 1D12193C
	v_add_f32_e32 v62, v89, v62                                // 000000006688: 027C7D59
	v_add_f32_e32 v62, v90, v62                                // 00000000668C: 027C7D5A
	v_add_f32_e32 v62, v91, v62                                // 000000006690: 027C7D5B
	v_add_f32_e32 v62, v92, v62                                // 000000006694: 027C7D5C
	v_add_f32_e32 v62, v93, v62                                // 000000006698: 027C7D5D
	v_add_f32_e32 v62, v94, v62                                // 00000000669C: 027C7D5E
	v_add_f32_e32 v62, v95, v62                                // 0000000066A0: 027C7D5F
	v_mfma_f32_32x32x8_bf16 v[68:83], a[62:63], a[14:15], v[68:83]// 0000000066A4: D3E00044 1D121D3E
	s_add_u32 m0, 0x440, m0                                    // 0000000066AC: 807C7CFF 00000440
	buffer_load_dword v19, s[12:15], s60 offen lds             // 0000000066B4: E0511000 3C030013
	ds_read_b128 a[104:107], v36 offset:13120                  // 0000000066BC: DBFE3340 68000024
	ds_read_b128 a[108:111], v36 offset:13152                  // 0000000066C4: DBFE3360 6C000024
	v_add_f32_e32 v62, v96, v62                                // 0000000066CC: 027C7D60
	v_add_f32_e32 v62, v97, v62                                // 0000000066D0: 027C7D61
	v_mfma_f32_32x32x8_bf16 v[68:83], a[64:65], a[16:17], v[68:83]// 0000000066D4: D3E00044 1D122140
	v_add_f32_e32 v62, v98, v62                                // 0000000066DC: 027C7D62
	v_add_f32_e32 v62, v99, v62                                // 0000000066E0: 027C7D63
	v_add_f32_e32 v46, v62, v46                                // 0000000066E4: 025C5D3E
	v_mul_f32_e32 v100, v44, v100                              // 0000000066E8: 0AC8C92C
	v_mul_f32_e32 v101, v44, v101                              // 0000000066EC: 0ACACB2C
	v_mul_f32_e32 v102, v44, v102                              // 0000000066F0: 0ACCCD2C
	v_mul_f32_e32 v103, v44, v103                              // 0000000066F4: 0ACECF2C
	v_mfma_f32_32x32x8_bf16 v[68:83], a[66:67], a[18:19], v[68:83]// 0000000066F8: D3E00044 1D122542
	s_add_u32 m0, 0x440, m0                                    // 000000006700: 807C7CFF 00000440
	buffer_load_dword v20, s[12:15], s60 offen lds             // 000000006708: E0511000 3C030014
	ds_read_b128 a[112:115], v36 offset:17408                  // 000000006710: DBFE4400 70000024
	ds_read_b128 a[116:119], v36 offset:17440                  // 000000006718: DBFE4420 74000024
	v_mul_f32_e32 v104, v44, v104                              // 000000006720: 0AD0D12C
	v_mul_f32_e32 v105, v44, v105                              // 000000006724: 0AD2D32C
	v_mfma_f32_32x32x8_bf16 v[68:83], a[68:69], a[20:21], v[68:83]// 000000006728: D3E00044 1D122944
	v_mul_f32_e32 v106, v44, v106                              // 000000006730: 0AD4D52C
	v_mul_f32_e32 v107, v44, v107                              // 000000006734: 0AD6D72C
	v_mul_f32_e32 v108, v44, v108                              // 000000006738: 0AD8D92C
	v_mul_f32_e32 v109, v44, v109                              // 00000000673C: 0ADADB2C
	v_mul_f32_e32 v110, v44, v110                              // 000000006740: 0ADCDD2C
	v_mul_f32_e32 v111, v44, v111                              // 000000006744: 0ADEDF2C
	v_mul_f32_e32 v112, v44, v112                              // 000000006748: 0AE0E12C
	v_mfma_f32_32x32x8_bf16 v[68:83], a[70:71], a[22:23], v[68:83]// 00000000674C: D3E00044 1D122D46
	s_add_u32 m0, 0x440, m0                                    // 000000006754: 807C7CFF 00000440
	buffer_load_dword v21, s[12:15], s60 offen lds             // 00000000675C: E0511000 3C030015
	ds_read_b128 a[120:123], v36 offset:17472                  // 000000006764: DBFE4440 78000024
	ds_read_b128 a[124:127], v36 offset:17504                  // 00000000676C: DBFE4460 7C000024
	v_mul_f32_e32 v113, v44, v113                              // 000000006774: 0AE2E32C
	v_mul_f32_e32 v114, v44, v114                              // 000000006778: 0AE4E52C
	v_mfma_f32_32x32x8_bf16 v[68:83], a[72:73], a[24:25], v[68:83]// 00000000677C: D3E00044 1D123148
	v_mul_f32_e32 v115, v44, v115                              // 000000006784: 0AE6E72C
	v_mul_f32_e32 v116, v44, v116                              // 000000006788: 0AE8E92C
	v_mul_f32_e32 v117, v44, v117                              // 00000000678C: 0AEAEB2C
	v_mul_f32_e32 v118, v44, v118                              // 000000006790: 0AECED2C
	v_mul_f32_e32 v119, v44, v119                              // 000000006794: 0AEEEF2C
	v_mul_f32_e32 v120, v44, v120                              // 000000006798: 0AF0F12C
	v_mul_f32_e32 v121, v44, v121                              // 00000000679C: 0AF2F32C
	v_mfma_f32_32x32x8_bf16 v[68:83], a[74:75], a[26:27], v[68:83]// 0000000067A0: D3E00044 1D12354A
	s_add_u32 m0, 0x440, m0                                    // 0000000067A8: 807C7CFF 00000440
	buffer_load_dword v22, s[12:15], s60 offen lds             // 0000000067B0: E0511000 3C030016
	ds_read_b128 a[128:131], v36 offset:21760                  // 0000000067B8: DBFE5500 80000024
	ds_read_b128 a[132:135], v36 offset:21792                  // 0000000067C0: DBFE5520 84000024
	v_mul_f32_e32 v122, v44, v122                              // 0000000067C8: 0AF4F52C
	v_mul_f32_e32 v123, v44, v123                              // 0000000067CC: 0AF6F72C
	v_mfma_f32_32x32x8_bf16 v[68:83], a[76:77], a[28:29], v[68:83]// 0000000067D0: D3E00044 1D12394C
	v_mul_f32_e32 v124, v44, v124                              // 0000000067D8: 0AF8F92C
	v_mul_f32_e32 v125, v44, v125                              // 0000000067DC: 0AFAFB2C
	v_mul_f32_e32 v126, v44, v126                              // 0000000067E0: 0AFCFD2C
	v_mul_f32_e32 v127, v44, v127                              // 0000000067E4: 0AFEFF2C
	v_mfma_f32_32x32x8_bf16 v[68:83], a[78:79], a[30:31], v[68:83]// 0000000067E8: D3E00044 1D123D4E
	s_add_u32 m0, 0x440, m0                                    // 0000000067F0: 807C7CFF 00000440
	buffer_load_dword v23, s[12:15], s60 offen lds             // 0000000067F8: E0511000 3C030017
	ds_read_b128 a[136:139], v36 offset:21824                  // 000000006800: DBFE5540 88000024
	ds_read_b128 a[140:143], v36 offset:21856                  // 000000006808: DBFE5560 8C000024
	v_cmp_u_f32_e64 s[70:71], v84, v84                         // 000000006810: D0480046 0002A954
	v_add3_u32 v64, v84, v67, 1                                // 000000006818: D1FF0040 02068754
	v_cndmask_b32_e64 v40, v64, v66, s[70:71]                  // 000000006820: D1000028 011A8540
	v_cmp_u_f32_e64 s[70:71], v85, v85                         // 000000006828: D0480046 0002AB55
	v_add3_u32 v64, v85, v67, 1                                // 000000006830: D1FF0040 02068755
	v_cndmask_b32_e64 v41, v64, v66, s[70:71]                  // 000000006838: D1000029 011A8540
	v_perm_b32 v84, v41, v40, s49                              // 000000006840: D1ED0054 00C65129
	v_mfma_f32_32x32x8_bf16 v[68:83], a[80:81], a[32:33], v[68:83]// 000000006848: D3E00044 1D124150
	v_cmp_u_f32_e64 s[70:71], v86, v86                         // 000000006850: D0480046 0002AD56
	v_add3_u32 v64, v86, v67, 1                                // 000000006858: D1FF0040 02068756
	v_cndmask_b32_e64 v40, v64, v66, s[70:71]                  // 000000006860: D1000028 011A8540
	v_cmp_u_f32_e64 s[70:71], v87, v87                         // 000000006868: D0480046 0002AF57
	v_add3_u32 v64, v87, v67, 1                                // 000000006870: D1FF0040 02068757
	v_cndmask_b32_e64 v41, v64, v66, s[70:71]                  // 000000006878: D1000029 011A8540
	v_perm_b32 v85, v41, v40, s49                              // 000000006880: D1ED0055 00C65129
	v_mfma_f32_32x32x8_bf16 v[68:83], a[82:83], a[34:35], v[68:83]// 000000006888: D3E00044 1D124552
	s_add_u32 m0, 0x440, m0                                    // 000000006890: 807C7CFF 00000440
	buffer_load_dword v24, s[12:15], s60 offen lds             // 000000006898: E0511000 3C030018
	v_cmp_u_f32_e64 s[70:71], v88, v88                         // 0000000068A0: D0480046 0002B158
	v_add3_u32 v64, v88, v67, 1                                // 0000000068A8: D1FF0040 02068758
	v_cndmask_b32_e64 v40, v64, v66, s[70:71]                  // 0000000068B0: D1000028 011A8540
	v_cmp_u_f32_e64 s[70:71], v89, v89                         // 0000000068B8: D0480046 0002B359
	v_add3_u32 v64, v89, v67, 1                                // 0000000068C0: D1FF0040 02068759
	v_cndmask_b32_e64 v41, v64, v66, s[70:71]                  // 0000000068C8: D1000029 011A8540
	v_perm_b32 v86, v41, v40, s49                              // 0000000068D0: D1ED0056 00C65129
	v_mfma_f32_32x32x8_bf16 v[68:83], a[84:85], a[36:37], v[68:83]// 0000000068D8: D3E00044 1D124954
	v_cmp_u_f32_e64 s[70:71], v90, v90                         // 0000000068E0: D0480046 0002B55A
	v_add3_u32 v64, v90, v67, 1                                // 0000000068E8: D1FF0040 0206875A
	v_cndmask_b32_e64 v40, v64, v66, s[70:71]                  // 0000000068F0: D1000028 011A8540
	v_cmp_u_f32_e64 s[70:71], v91, v91                         // 0000000068F8: D0480046 0002B75B
	v_add3_u32 v64, v91, v67, 1                                // 000000006900: D1FF0040 0206875B
	v_cndmask_b32_e64 v41, v64, v66, s[70:71]                  // 000000006908: D1000029 011A8540
	v_perm_b32 v87, v41, v40, s49                              // 000000006910: D1ED0057 00C65129
	v_mfma_f32_32x32x8_bf16 v[68:83], a[86:87], a[38:39], v[68:83]// 000000006918: D3E00044 1D124D56
	s_add_u32 m0, 0x440, m0                                    // 000000006920: 807C7CFF 00000440
	buffer_load_dword v25, s[12:15], s60 offen lds             // 000000006928: E0511000 3C030019
	v_cmp_u_f32_e64 s[70:71], v92, v92                         // 000000006930: D0480046 0002B95C
	v_add3_u32 v64, v92, v67, 1                                // 000000006938: D1FF0040 0206875C
	v_cndmask_b32_e64 v40, v64, v66, s[70:71]                  // 000000006940: D1000028 011A8540
	v_cmp_u_f32_e64 s[70:71], v93, v93                         // 000000006948: D0480046 0002BB5D
	v_add3_u32 v64, v93, v67, 1                                // 000000006950: D1FF0040 0206875D
	v_cndmask_b32_e64 v41, v64, v66, s[70:71]                  // 000000006958: D1000029 011A8540
	v_perm_b32 v88, v41, v40, s49                              // 000000006960: D1ED0058 00C65129
	v_mfma_f32_32x32x8_bf16 v[68:83], a[88:89], a[40:41], v[68:83]// 000000006968: D3E00044 1D125158
	v_cmp_u_f32_e64 s[70:71], v94, v94                         // 000000006970: D0480046 0002BD5E
	v_add3_u32 v64, v94, v67, 1                                // 000000006978: D1FF0040 0206875E
	v_cndmask_b32_e64 v40, v64, v66, s[70:71]                  // 000000006980: D1000028 011A8540
	v_cmp_u_f32_e64 s[70:71], v95, v95                         // 000000006988: D0480046 0002BF5F
	v_add3_u32 v64, v95, v67, 1                                // 000000006990: D1FF0040 0206875F
	v_cndmask_b32_e64 v41, v64, v66, s[70:71]                  // 000000006998: D1000029 011A8540
	v_perm_b32 v89, v41, v40, s49                              // 0000000069A0: D1ED0059 00C65129
	v_mfma_f32_32x32x8_bf16 v[68:83], a[90:91], a[42:43], v[68:83]// 0000000069A8: D3E00044 1D12555A
	s_add_u32 m0, 0x440, m0                                    // 0000000069B0: 807C7CFF 00000440
	buffer_load_dword v26, s[12:15], s60 offen lds             // 0000000069B8: E0511000 3C03001A
	v_cmp_u_f32_e64 s[70:71], v96, v96                         // 0000000069C0: D0480046 0002C160
	v_add3_u32 v64, v96, v67, 1                                // 0000000069C8: D1FF0040 02068760
	v_cndmask_b32_e64 v40, v64, v66, s[70:71]                  // 0000000069D0: D1000028 011A8540
	v_cmp_u_f32_e64 s[70:71], v97, v97                         // 0000000069D8: D0480046 0002C361
	v_add3_u32 v64, v97, v67, 1                                // 0000000069E0: D1FF0040 02068761
	v_cndmask_b32_e64 v41, v64, v66, s[70:71]                  // 0000000069E8: D1000029 011A8540
	v_perm_b32 v90, v41, v40, s49                              // 0000000069F0: D1ED005A 00C65129
	v_mfma_f32_32x32x8_bf16 v[68:83], a[92:93], a[44:45], v[68:83]// 0000000069F8: D3E00044 1D12595C
	v_cmp_u_f32_e64 s[70:71], v98, v98                         // 000000006A00: D0480046 0002C562
	v_add3_u32 v64, v98, v67, 1                                // 000000006A08: D1FF0040 02068762
	v_cndmask_b32_e64 v40, v64, v66, s[70:71]                  // 000000006A10: D1000028 011A8540
	v_cmp_u_f32_e64 s[70:71], v99, v99                         // 000000006A18: D0480046 0002C763
	v_add3_u32 v64, v99, v67, 1                                // 000000006A20: D1FF0040 02068763
	v_cndmask_b32_e64 v41, v64, v66, s[70:71]                  // 000000006A28: D1000029 011A8540
	v_perm_b32 v91, v41, v40, s49                              // 000000006A30: D1ED005B 00C65129
	v_mfma_f32_32x32x8_bf16 v[68:83], a[94:95], a[46:47], v[68:83]// 000000006A38: D3E00044 1D125D5E
	s_add_u32 m0, 0x440, m0                                    // 000000006A40: 807C7CFF 00000440
	buffer_load_dword v27, s[12:15], s60 offen lds             // 000000006A48: E0511000 3C03001B
	s_add_i32 s60, s43, s60                                    // 000000006A50: 813C3C2B
	s_cmp_lt_i32 s52, s51                                      // 000000006A54: BF043334
	s_cbranch_scc1 label_0E64                                  // 000000006A58: BF85008D
	s_nop 0                                                    // 000000006A5C: BF800000
	s_sub_i32 s40, s51, s52                                    // 000000006A60: 81A83433
	s_sub_i32 s41, s7, s30                                     // 000000006A64: 81A91E07
	s_and_b32 s41, s41, 31                                     // 000000006A68: 86299F29
	s_add_i32 s40, s40, s41                                    // 000000006A6C: 81282928
	v_add_i32 v40, v53, s40                                    // 000000006A70: D29C0028 00005135
	v_cmp_lt_i32_e64 s[72:73], v40, 0                          // 000000006A78: D0C10048 00010128
	v_cmp_lt_i32_e64 s[74:75], v40, 1                          // 000000006A80: D0C1004A 00010328
	v_cndmask_b32_e64 v68, v68, v55, s[72:73]                  // 000000006A88: D1000044 01226F44
	v_cndmask_b32_e64 v69, v69, v55, s[74:75]                  // 000000006A90: D1000045 012A6F45
	v_cmp_lt_i32_e64 s[72:73], v40, 2                          // 000000006A98: D0C10048 00010528
	v_cmp_lt_i32_e64 s[74:75], v40, 3                          // 000000006AA0: D0C1004A 00010728
	v_cndmask_b32_e64 v70, v70, v55, s[72:73]                  // 000000006AA8: D1000046 01226F46
	v_cndmask_b32_e64 v71, v71, v55, s[74:75]                  // 000000006AB0: D1000047 012A6F47
	v_cmp_lt_i32_e64 s[72:73], v40, 8                          // 000000006AB8: D0C10048 00011128
	v_cmp_lt_i32_e64 s[74:75], v40, 9                          // 000000006AC0: D0C1004A 00011328
	v_cndmask_b32_e64 v72, v72, v55, s[72:73]                  // 000000006AC8: D1000048 01226F48
	v_cndmask_b32_e64 v73, v73, v55, s[74:75]                  // 000000006AD0: D1000049 012A6F49
	v_cmp_lt_i32_e64 s[72:73], v40, 10                         // 000000006AD8: D0C10048 00011528
	v_cmp_lt_i32_e64 s[74:75], v40, 11                         // 000000006AE0: D0C1004A 00011728
	v_cndmask_b32_e64 v74, v74, v55, s[72:73]                  // 000000006AE8: D100004A 01226F4A
	v_cndmask_b32_e64 v75, v75, v55, s[74:75]                  // 000000006AF0: D100004B 012A6F4B
	v_cmp_lt_i32_e64 s[72:73], v40, 16                         // 000000006AF8: D0C10048 00012128
	v_cmp_lt_i32_e64 s[74:75], v40, 17                         // 000000006B00: D0C1004A 00012328
	v_cndmask_b32_e64 v76, v76, v55, s[72:73]                  // 000000006B08: D100004C 01226F4C
	v_cndmask_b32_e64 v77, v77, v55, s[74:75]                  // 000000006B10: D100004D 012A6F4D
	v_cmp_lt_i32_e64 s[72:73], v40, 18                         // 000000006B18: D0C10048 00012528
	v_cmp_lt_i32_e64 s[74:75], v40, 19                         // 000000006B20: D0C1004A 00012728
	v_cndmask_b32_e64 v78, v78, v55, s[72:73]                  // 000000006B28: D100004E 01226F4E
	v_cndmask_b32_e64 v79, v79, v55, s[74:75]                  // 000000006B30: D100004F 012A6F4F
	v_cmp_lt_i32_e64 s[72:73], v40, 24                         // 000000006B38: D0C10048 00013128
	v_cmp_lt_i32_e64 s[74:75], v40, 25                         // 000000006B40: D0C1004A 00013328
	v_cndmask_b32_e64 v80, v80, v55, s[72:73]                  // 000000006B48: D1000050 01226F50
	v_cndmask_b32_e64 v81, v81, v55, s[74:75]                  // 000000006B50: D1000051 012A6F51
	v_cmp_lt_i32_e64 s[72:73], v40, 26                         // 000000006B58: D0C10048 00013528
	v_cmp_lt_i32_e64 s[74:75], v40, 27                         // 000000006B60: D0C1004A 00013728
	v_cndmask_b32_e64 v82, v82, v55, s[72:73]                  // 000000006B68: D1000052 01226F52
	v_cndmask_b32_e64 v83, v83, v55, s[74:75]                  // 000000006B70: D1000053 012A6F53
	s_nop 0                                                    // 000000006B78: BF800000
	s_cmp_lt_i32 s52, s54                                      // 000000006B7C: BF043634
	s_cbranch_scc1 label_0E64                                  // 000000006B80: BF850043
	s_sub_i32 s40, s7, s52                                     // 000000006B84: 81A83407
	v_sub_i32 v40, s40, v54                                    // 000000006B88: D29D0028 00026C28
	v_cmp_lt_i32_e64 s[72:73], 0, v40                          // 000000006B90: D0C10048 00025080
	v_cmp_lt_i32_e64 s[74:75], 1, v40                          // 000000006B98: D0C1004A 00025081
	v_cndmask_b32_e64 v68, v55, v68, s[72:73]                  // 000000006BA0: D1000044 01228937
	v_cndmask_b32_e64 v69, v55, v69, s[74:75]                  // 000000006BA8: D1000045 012A8B37
	v_cmp_lt_i32_e64 s[72:73], 2, v40                          // 000000006BB0: D0C10048 00025082
	v_cmp_lt_i32_e64 s[74:75], 3, v40                          // 000000006BB8: D0C1004A 00025083
	v_cndmask_b32_e64 v70, v55, v70, s[72:73]                  // 000000006BC0: D1000046 01228D37
	v_cndmask_b32_e64 v71, v55, v71, s[74:75]                  // 000000006BC8: D1000047 012A8F37
	v_cmp_lt_i32_e64 s[72:73], 8, v40                          // 000000006BD0: D0C10048 00025088
	v_cmp_lt_i32_e64 s[74:75], 9, v40                          // 000000006BD8: D0C1004A 00025089
	v_cndmask_b32_e64 v72, v55, v72, s[72:73]                  // 000000006BE0: D1000048 01229137
	v_cndmask_b32_e64 v73, v55, v73, s[74:75]                  // 000000006BE8: D1000049 012A9337
	v_cmp_lt_i32_e64 s[72:73], 10, v40                         // 000000006BF0: D0C10048 0002508A
	v_cmp_lt_i32_e64 s[74:75], 11, v40                         // 000000006BF8: D0C1004A 0002508B
	v_cndmask_b32_e64 v74, v55, v74, s[72:73]                  // 000000006C00: D100004A 01229537
	v_cndmask_b32_e64 v75, v55, v75, s[74:75]                  // 000000006C08: D100004B 012A9737
	v_cmp_lt_i32_e64 s[72:73], 16, v40                         // 000000006C10: D0C10048 00025090
	v_cmp_lt_i32_e64 s[74:75], 17, v40                         // 000000006C18: D0C1004A 00025091
	v_cndmask_b32_e64 v76, v55, v76, s[72:73]                  // 000000006C20: D100004C 01229937
	v_cndmask_b32_e64 v77, v55, v77, s[74:75]                  // 000000006C28: D100004D 012A9B37
	v_cmp_lt_i32_e64 s[72:73], 18, v40                         // 000000006C30: D0C10048 00025092
	v_cmp_lt_i32_e64 s[74:75], 19, v40                         // 000000006C38: D0C1004A 00025093
	v_cndmask_b32_e64 v78, v55, v78, s[72:73]                  // 000000006C40: D100004E 01229D37
	v_cndmask_b32_e64 v79, v55, v79, s[74:75]                  // 000000006C48: D100004F 012A9F37
	v_cmp_lt_i32_e64 s[72:73], 24, v40                         // 000000006C50: D0C10048 00025098
	v_cmp_lt_i32_e64 s[74:75], 25, v40                         // 000000006C58: D0C1004A 00025099
	v_cndmask_b32_e64 v80, v55, v80, s[72:73]                  // 000000006C60: D1000050 0122A137
	v_cndmask_b32_e64 v81, v55, v81, s[74:75]                  // 000000006C68: D1000051 012AA337
	v_cmp_lt_i32_e64 s[72:73], 26, v40                         // 000000006C70: D0C10048 0002509A
	v_cmp_lt_i32_e64 s[74:75], 27, v40                         // 000000006C78: D0C1004A 0002509B
	v_cndmask_b32_e64 v82, v55, v82, s[72:73]                  // 000000006C80: D1000052 0122A537
	v_cndmask_b32_e64 v83, v55, v83, s[74:75]                  // 000000006C88: D1000053 012AA737

0000000000006c90 <label_0E64>:
	s_waitcnt vmcnt(12) lgkmcnt(12)                            // 000000006C90: BF8C0C7C
	s_barrier                                                  // 000000006C94: BF8A0000
	v_mfma_f32_32x32x8_bf16 v[100:115], a[176:177], v[84:85], v[100:115]// 000000006C98: D3E00064 0D92A9B0
	v_max3_f32 v49, v68, v69, v52                              // 000000006CA0: D1D30031 04D28B44
	v_max3_f32 v49, v70, v71, v49                              // 000000006CA8: D1D30031 04C68F46
	v_max3_f32 v49, v72, v73, v49                              // 000000006CB0: D1D30031 04C69348
	v_max3_f32 v49, v74, v75, v49                              // 000000006CB8: D1D30031 04C6974A
	v_max3_f32 v49, v76, v77, v49                              // 000000006CC0: D1D30031 04C69B4C
	v_max3_f32 v49, v78, v79, v49                              // 000000006CC8: D1D30031 04C69F4E
	v_max3_f32 v49, v80, v81, v49                              // 000000006CD0: D1D30031 04C6A350
	v_mfma_f32_32x32x8_bf16 v[100:115], a[178:179], v[86:87], v[100:115]// 000000006CD8: D3E00064 0D92ADB2
	buffer_load_dword v164, v28, s[16:19], s35 offen           // 000000006CE0: E0501000 2304A41C
	v_max3_f32 v49, v82, v83, v49                              // 000000006CE8: D1D30031 04C6A752
	ds_permute_b32 v48, v56, v49                               // 000000006CF0: D87C0000 30003138
	v_mfma_f32_32x32x8_bf16 v[100:115], a[180:181], v[88:89], v[100:115]// 000000006CF8: D3E00064 0D92B1B4
	v_perm_b32 v188, v173, v172, s50                           // 000000006D00: D1ED00BC 00CB59AD
	v_perm_b32 v192, v173, v172, s49                           // 000000006D08: D1ED00C0 00C759AD
	v_perm_b32 v189, v175, v174, s50                           // 000000006D10: D1ED00BD 00CB5DAF
	v_perm_b32 v193, v175, v174, s49                           // 000000006D18: D1ED00C1 00C75DAF
	v_nop                                                      // 000000006D20: 7E000000
	s_nop 0                                                    // 000000006D24: BF800000
	v_mfma_f32_32x32x8_bf16 v[100:115], a[182:183], v[90:91], v[100:115]// 000000006D28: D3E00064 0D92B5B6
	buffer_load_dword v165, v29, s[16:19], s35 offen           // 000000006D30: E0501000 2304A51D
	v_perm_b32 v190, v177, v176, s50                           // 000000006D38: D1ED00BE 00CB61B1
	v_perm_b32 v194, v177, v176, s49                           // 000000006D40: D1ED00C2 00C761B1
	v_perm_b32 v191, v179, v178, s50                           // 000000006D48: D1ED00BF 00CB65B3
	v_perm_b32 v195, v179, v178, s49                           // 000000006D50: D1ED00C3 00C765B3
	v_nop                                                      // 000000006D58: 7E000000
	v_mfma_f32_32x32x8_bf16 v[116:131], a[184:185], v[84:85], v[116:131]// 000000006D5C: D3E00074 0DD2A9B8
	s_waitcnt lgkmcnt(0)                                       // 000000006D64: BF8CC07F
	v_max_f32_e32 v49, v48, v49                                // 000000006D68: 16626330
	v_sub_f32_e32 v44, v52, v49                                // 000000006D6C: 04586334
	v_mov_b32_e32 v52, v49                                     // 000000006D70: 7E680331
	v_mul_f32_e32 v51, s56, v49                                // 000000006D74: 0A666238
	v_mul_f32_e32 v44, s56, v44                                // 000000006D78: 0A585838
	v_mfma_f32_32x32x8_bf16 v[116:131], a[186:187], v[86:87], v[116:131]// 000000006D7C: D3E00074 0DD2ADBA
	buffer_load_dword v166, v30, s[16:19], s35 offen           // 000000006D84: E0501000 2304A61E
	v_exp_f32_e32 v44, v44                                     // 000000006D8C: 7E58412C
	v_fma_f32 v68, v68, s56, -v51                              // 000000006D90: D1CB0044 84CC7144
	v_fma_f32 v69, v69, s56, -v51                              // 000000006D98: D1CB0045 84CC7145
	v_mfma_f32_32x32x8_bf16 v[116:131], a[188:189], v[88:89], v[116:131]// 000000006DA0: D3E00074 0DD2B1BC
	v_fma_f32 v70, v70, s56, -v51                              // 000000006DA8: D1CB0046 84CC7146
	v_fma_f32 v71, v71, s56, -v51                              // 000000006DB0: D1CB0047 84CC7147
	v_fma_f32 v72, v72, s56, -v51                              // 000000006DB8: D1CB0048 84CC7148
	v_fma_f32 v73, v73, s56, -v51                              // 000000006DC0: D1CB0049 84CC7149
	v_fma_f32 v74, v74, s56, -v51                              // 000000006DC8: D1CB004A 84CC714A
	v_fma_f32 v75, v75, s56, -v51                              // 000000006DD0: D1CB004B 84CC714B
	v_fma_f32 v76, v76, s56, -v51                              // 000000006DD8: D1CB004C 84CC714C
	v_mfma_f32_32x32x8_bf16 v[116:131], a[190:191], v[90:91], v[116:131]// 000000006DE0: D3E00074 0DD2B5BE
	buffer_load_dword v167, v31, s[16:19], s35 offen           // 000000006DE8: E0501000 2304A71F
	ds_read_b128 a[144:147], v37 offset:26112                  // 000000006DF0: DBFE6600 90000025
	ds_read_b128 a[148:151], v37 offset:28160                  // 000000006DF8: DBFE6E00 94000025
	ds_read_b128 a[152:155], v37 offset:26368                  // 000000006E00: DBFE6700 98000025
	ds_read_b128 a[156:159], v37 offset:28416                  // 000000006E08: DBFE6F00 9C000025
	v_mfma_f32_32x32x8_bf16 v[132:147], a[192:193], v[84:85], v[132:147]// 000000006E10: D3E00084 0E12A9C0
	v_fma_f32 v77, v77, s56, -v51                              // 000000006E18: D1CB004D 84CC714D
	v_fma_f32 v78, v78, s56, -v51                              // 000000006E20: D1CB004E 84CC714E
	v_fma_f32 v79, v79, s56, -v51                              // 000000006E28: D1CB004F 84CC714F
	v_fma_f32 v80, v80, s56, -v51                              // 000000006E30: D1CB0050 84CC7150
	v_fma_f32 v81, v81, s56, -v51                              // 000000006E38: D1CB0051 84CC7151
	v_fma_f32 v82, v82, s56, -v51                              // 000000006E40: D1CB0052 84CC7152
	v_fma_f32 v83, v83, s56, -v51                              // 000000006E48: D1CB0053 84CC7153
	v_mfma_f32_32x32x8_bf16 v[132:147], a[194:195], v[86:87], v[132:147]// 000000006E50: D3E00084 0E12ADC2
	buffer_load_dword v168, v32, s[16:19], s35 offen           // 000000006E58: E0501000 2304A820
	v_exp_f32_e32 v68, v68                                     // 000000006E60: 7E884144
	v_exp_f32_e32 v69, v69                                     // 000000006E64: 7E8A4145
	v_mfma_f32_32x32x8_bf16 v[132:147], a[196:197], v[88:89], v[132:147]// 000000006E68: D3E00084 0E12B1C4
	v_exp_f32_e32 v70, v70                                     // 000000006E70: 7E8C4146
	v_exp_f32_e32 v71, v71                                     // 000000006E74: 7E8E4147
	v_mfma_f32_32x32x8_bf16 v[132:147], a[198:199], v[90:91], v[132:147]// 000000006E78: D3E00084 0E12B5C6
	buffer_load_dword v169, v33, s[16:19], s35 offen           // 000000006E80: E0501000 2304A921
	ds_read_b128 a[160:163], v37 offset:26624                  // 000000006E88: DBFE6800 A0000025
	ds_read_b128 a[164:167], v37 offset:28672                  // 000000006E90: DBFE7000 A4000025
	ds_read_b128 a[168:171], v37 offset:26880                  // 000000006E98: DBFE6900 A8000025
	ds_read_b128 a[172:175], v37 offset:28928                  // 000000006EA0: DBFE7100 AC000025
	v_mfma_f32_32x32x8_bf16 v[148:163], a[200:201], v[84:85], v[148:163]// 000000006EA8: D3E00094 0E52A9C8
	v_exp_f32_e32 v72, v72                                     // 000000006EB0: 7E904148
	v_exp_f32_e32 v73, v73                                     // 000000006EB4: 7E924149
	v_mfma_f32_32x32x8_bf16 v[148:163], a[202:203], v[86:87], v[148:163]// 000000006EB8: D3E00094 0E52ADCA
	buffer_load_dword v170, v34, s[16:19], s35 offen           // 000000006EC0: E0501000 2304AA22
	v_exp_f32_e32 v74, v74                                     // 000000006EC8: 7E94414A
	v_exp_f32_e32 v75, v75                                     // 000000006ECC: 7E96414B
	v_mfma_f32_32x32x8_bf16 v[148:163], a[204:205], v[88:89], v[148:163]// 000000006ED0: D3E00094 0E52B1CC
	v_exp_f32_e32 v76, v76                                     // 000000006ED8: 7E98414C
	v_exp_f32_e32 v77, v77                                     // 000000006EDC: 7E9A414D
	v_mfma_f32_32x32x8_bf16 v[148:163], a[206:207], v[90:91], v[148:163]// 000000006EE0: D3E00094 0E52B5CE
	buffer_load_dword v171, v35, s[16:19], s35 offen           // 000000006EE8: E0501000 2304AB23
	v_exp_f32_e32 v78, v78                                     // 000000006EF0: 7E9C414E
	s_add_i32 s35, s44, s35                                    // 000000006EF4: 8123232C
	s_add_i32 s52, s52, s53                                    // 000000006EF8: 81343534
	s_addk_i32 s39, 0x20                                       // 000000006EFC: B7270020
	s_cmp_lt_i32 s39, s38                                      // 000000006F00: BF042627
	v_mov_b32_e32 v45, v44                                     // 000000006F04: 7E5A032C
	v_mul_f32_e32 v128, v44, v128                              // 000000006F08: 0B01012C
	v_mul_f32_e32 v129, v44, v129                              // 000000006F0C: 0B03032C
	v_pk_mul_f32 v[130:131], v[44:45], v[130:131]              // 000000006F10: D3B14082 1803052C
	v_pk_mul_f32 v[132:133], v[44:45], v[132:133]              // 000000006F18: D3B14084 1803092C
	v_pk_mul_f32 v[134:135], v[44:45], v[134:135]              // 000000006F20: D3B14086 18030D2C
	v_pk_mul_f32 v[136:137], v[44:45], v[136:137]              // 000000006F28: D3B14088 1803112C
	v_pk_mul_f32 v[138:139], v[44:45], v[138:139]              // 000000006F30: D3B1408A 1803152C
	v_pk_mul_f32 v[140:141], v[44:45], v[140:141]              // 000000006F38: D3B1408C 1803192C
	v_pk_mul_f32 v[142:143], v[44:45], v[142:143]              // 000000006F40: D3B1408E 18031D2C
	v_pk_mul_f32 v[144:145], v[44:45], v[144:145]              // 000000006F48: D3B14090 1803212C
	v_pk_mul_f32 v[146:147], v[44:45], v[146:147]              // 000000006F50: D3B14092 1803252C
	v_pk_mul_f32 v[148:149], v[44:45], v[148:149]              // 000000006F58: D3B14094 1803292C
	v_pk_mul_f32 v[150:151], v[44:45], v[150:151]              // 000000006F60: D3B14096 18032D2C
	v_pk_mul_f32 v[152:153], v[44:45], v[152:153]              // 000000006F68: D3B14098 1803312C
	v_pk_mul_f32 v[154:155], v[44:45], v[154:155]              // 000000006F70: D3B1409A 1803352C
	v_pk_mul_f32 v[156:157], v[44:45], v[156:157]              // 000000006F78: D3B1409C 1803392C
	v_pk_mul_f32 v[158:159], v[44:45], v[158:159]              // 000000006F80: D3B1409E 18033D2C
	v_pk_mul_f32 v[160:161], v[44:45], v[160:161]              // 000000006F88: D3B140A0 1803412C
	v_pk_mul_f32 v[162:163], v[44:45], v[162:163]              // 000000006F90: D3B140A2 1803452C
	s_cbranch_scc0 label_0F28                                  // 000000006F98: BF840001
	s_branch label_0A43                                        // 000000006F9C: BF82FB1B

0000000000006fa0 <label_0F28>:
	s_add_u32 s40, s38, 31                                     // 000000006FA0: 80289F26
	s_lshr_b32 s40, s40, 5                                     // 000000006FA4: 8F288528
	s_and_b32 s40, 1, s40                                      // 000000006FA8: 86282881
	s_cmp_lt_i32 s40, 1                                        // 000000006FAC: BF048128
	s_cbranch_scc0 label_0FF3                                  // 000000006FB0: BF8400C6
	s_nop 0                                                    // 000000006FB4: BF800000
	v_exp_f32_e32 v95, v95                                     // 000000006FB8: 7EBE415F
	v_exp_f32_e32 v96, v96                                     // 000000006FBC: 7EC04160
	v_exp_f32_e32 v97, v97                                     // 000000006FC0: 7EC24161
	v_exp_f32_e32 v98, v98                                     // 000000006FC4: 7EC44162
	v_exp_f32_e32 v99, v99                                     // 000000006FC8: 7EC64163
	v_mul_f32_e32 v46, v44, v46                                // 000000006FCC: 0A5C5D2C
	v_add_f32_e32 v62, v85, v84                                // 000000006FD0: 027CA955
	v_add_f32_e32 v62, v86, v62                                // 000000006FD4: 027C7D56
	v_add_f32_e32 v62, v87, v62                                // 000000006FD8: 027C7D57
	v_add_f32_e32 v62, v88, v62                                // 000000006FDC: 027C7D58
	v_add_f32_e32 v62, v89, v62                                // 000000006FE0: 027C7D59
	v_add_f32_e32 v62, v90, v62                                // 000000006FE4: 027C7D5A
	v_add_f32_e32 v62, v91, v62                                // 000000006FE8: 027C7D5B
	v_add_f32_e32 v62, v92, v62                                // 000000006FEC: 027C7D5C
	v_add_f32_e32 v62, v93, v62                                // 000000006FF0: 027C7D5D
	v_add_f32_e32 v62, v94, v62                                // 000000006FF4: 027C7D5E
	v_add_f32_e32 v62, v95, v62                                // 000000006FF8: 027C7D5F
	v_add_f32_e32 v62, v96, v62                                // 000000006FFC: 027C7D60
	v_add_f32_e32 v62, v97, v62                                // 000000007000: 027C7D61
	v_add_f32_e32 v62, v98, v62                                // 000000007004: 027C7D62
	v_add_f32_e32 v62, v99, v62                                // 000000007008: 027C7D63
	v_add_f32_e32 v46, v62, v46                                // 00000000700C: 025C5D3E
	v_mul_f32_e32 v100, v44, v100                              // 000000007010: 0AC8C92C
	v_mul_f32_e32 v101, v44, v101                              // 000000007014: 0ACACB2C
	v_mul_f32_e32 v102, v44, v102                              // 000000007018: 0ACCCD2C
	v_mul_f32_e32 v103, v44, v103                              // 00000000701C: 0ACECF2C
	v_mul_f32_e32 v104, v44, v104                              // 000000007020: 0AD0D12C
	v_mul_f32_e32 v105, v44, v105                              // 000000007024: 0AD2D32C
	v_mul_f32_e32 v106, v44, v106                              // 000000007028: 0AD4D52C
	v_mul_f32_e32 v107, v44, v107                              // 00000000702C: 0AD6D72C
	v_mul_f32_e32 v108, v44, v108                              // 000000007030: 0AD8D92C
	v_mul_f32_e32 v109, v44, v109                              // 000000007034: 0ADADB2C
	v_mul_f32_e32 v110, v44, v110                              // 000000007038: 0ADCDD2C
	v_mul_f32_e32 v111, v44, v111                              // 00000000703C: 0ADEDF2C
	v_mul_f32_e32 v112, v44, v112                              // 000000007040: 0AE0E12C
	v_mul_f32_e32 v113, v44, v113                              // 000000007044: 0AE2E32C
	v_mul_f32_e32 v114, v44, v114                              // 000000007048: 0AE4E52C
	v_mul_f32_e32 v115, v44, v115                              // 00000000704C: 0AE6E72C
	v_mul_f32_e32 v116, v44, v116                              // 000000007050: 0AE8E92C
	v_mul_f32_e32 v117, v44, v117                              // 000000007054: 0AEAEB2C
	v_mul_f32_e32 v118, v44, v118                              // 000000007058: 0AECED2C
	v_mul_f32_e32 v119, v44, v119                              // 00000000705C: 0AEEEF2C
	v_mul_f32_e32 v120, v44, v120                              // 000000007060: 0AF0F12C
	v_mul_f32_e32 v121, v44, v121                              // 000000007064: 0AF2F32C
	v_mul_f32_e32 v122, v44, v122                              // 000000007068: 0AF4F52C
	v_mul_f32_e32 v123, v44, v123                              // 00000000706C: 0AF6F72C
	v_mul_f32_e32 v124, v44, v124                              // 000000007070: 0AF8F92C
	v_mul_f32_e32 v125, v44, v125                              // 000000007074: 0AFAFB2C
	v_mul_f32_e32 v126, v44, v126                              // 000000007078: 0AFCFD2C
	v_mul_f32_e32 v127, v44, v127                              // 00000000707C: 0AFEFF2C
	v_cmp_u_f32_e64 s[70:71], v84, v84                         // 000000007080: D0480046 0002A954
	v_add3_u32 v64, v84, v67, 1                                // 000000007088: D1FF0040 02068754
	v_cndmask_b32_e64 v40, v64, v66, s[70:71]                  // 000000007090: D1000028 011A8540
	v_cmp_u_f32_e64 s[70:71], v85, v85                         // 000000007098: D0480046 0002AB55
	v_add3_u32 v64, v85, v67, 1                                // 0000000070A0: D1FF0040 02068755
	v_cndmask_b32_e64 v41, v64, v66, s[70:71]                  // 0000000070A8: D1000029 011A8540
	v_perm_b32 v84, v41, v40, s49                              // 0000000070B0: D1ED0054 00C65129
	v_cmp_u_f32_e64 s[70:71], v86, v86                         // 0000000070B8: D0480046 0002AD56
	v_add3_u32 v64, v86, v67, 1                                // 0000000070C0: D1FF0040 02068756
	v_cndmask_b32_e64 v40, v64, v66, s[70:71]                  // 0000000070C8: D1000028 011A8540
	v_cmp_u_f32_e64 s[70:71], v87, v87                         // 0000000070D0: D0480046 0002AF57
	v_add3_u32 v64, v87, v67, 1                                // 0000000070D8: D1FF0040 02068757
	v_cndmask_b32_e64 v41, v64, v66, s[70:71]                  // 0000000070E0: D1000029 011A8540
	v_perm_b32 v85, v41, v40, s49                              // 0000000070E8: D1ED0055 00C65129
	v_cmp_u_f32_e64 s[70:71], v88, v88                         // 0000000070F0: D0480046 0002B158
	v_add3_u32 v64, v88, v67, 1                                // 0000000070F8: D1FF0040 02068758
	v_cndmask_b32_e64 v40, v64, v66, s[70:71]                  // 000000007100: D1000028 011A8540
	v_cmp_u_f32_e64 s[70:71], v89, v89                         // 000000007108: D0480046 0002B359
	v_add3_u32 v64, v89, v67, 1                                // 000000007110: D1FF0040 02068759
	v_cndmask_b32_e64 v41, v64, v66, s[70:71]                  // 000000007118: D1000029 011A8540
	v_perm_b32 v86, v41, v40, s49                              // 000000007120: D1ED0056 00C65129
	v_cmp_u_f32_e64 s[70:71], v90, v90                         // 000000007128: D0480046 0002B55A
	v_add3_u32 v64, v90, v67, 1                                // 000000007130: D1FF0040 0206875A
	v_cndmask_b32_e64 v40, v64, v66, s[70:71]                  // 000000007138: D1000028 011A8540
	v_cmp_u_f32_e64 s[70:71], v91, v91                         // 000000007140: D0480046 0002B75B
	v_add3_u32 v64, v91, v67, 1                                // 000000007148: D1FF0040 0206875B
	v_cndmask_b32_e64 v41, v64, v66, s[70:71]                  // 000000007150: D1000029 011A8540
	v_perm_b32 v87, v41, v40, s49                              // 000000007158: D1ED0057 00C65129
	v_cmp_u_f32_e64 s[70:71], v92, v92                         // 000000007160: D0480046 0002B95C
	v_add3_u32 v64, v92, v67, 1                                // 000000007168: D1FF0040 0206875C
	v_cndmask_b32_e64 v40, v64, v66, s[70:71]                  // 000000007170: D1000028 011A8540
	v_cmp_u_f32_e64 s[70:71], v93, v93                         // 000000007178: D0480046 0002BB5D
	v_add3_u32 v64, v93, v67, 1                                // 000000007180: D1FF0040 0206875D
	v_cndmask_b32_e64 v41, v64, v66, s[70:71]                  // 000000007188: D1000029 011A8540
	v_perm_b32 v88, v41, v40, s49                              // 000000007190: D1ED0058 00C65129
	v_cmp_u_f32_e64 s[70:71], v94, v94                         // 000000007198: D0480046 0002BD5E
	v_add3_u32 v64, v94, v67, 1                                // 0000000071A0: D1FF0040 0206875E
	v_cndmask_b32_e64 v40, v64, v66, s[70:71]                  // 0000000071A8: D1000028 011A8540
	v_cmp_u_f32_e64 s[70:71], v95, v95                         // 0000000071B0: D0480046 0002BF5F
	v_add3_u32 v64, v95, v67, 1                                // 0000000071B8: D1FF0040 0206875F
	v_cndmask_b32_e64 v41, v64, v66, s[70:71]                  // 0000000071C0: D1000029 011A8540
	v_perm_b32 v89, v41, v40, s49                              // 0000000071C8: D1ED0059 00C65129
	v_cmp_u_f32_e64 s[70:71], v96, v96                         // 0000000071D0: D0480046 0002C160
	v_add3_u32 v64, v96, v67, 1                                // 0000000071D8: D1FF0040 02068760
	v_cndmask_b32_e64 v40, v64, v66, s[70:71]                  // 0000000071E0: D1000028 011A8540
	v_cmp_u_f32_e64 s[70:71], v97, v97                         // 0000000071E8: D0480046 0002C361
	v_add3_u32 v64, v97, v67, 1                                // 0000000071F0: D1FF0040 02068761
	v_cndmask_b32_e64 v41, v64, v66, s[70:71]                  // 0000000071F8: D1000029 011A8540
	v_perm_b32 v90, v41, v40, s49                              // 000000007200: D1ED005A 00C65129
	v_cmp_u_f32_e64 s[70:71], v98, v98                         // 000000007208: D0480046 0002C562
	v_add3_u32 v64, v98, v67, 1                                // 000000007210: D1FF0040 02068762
	v_cndmask_b32_e64 v40, v64, v66, s[70:71]                  // 000000007218: D1000028 011A8540
	v_cmp_u_f32_e64 s[70:71], v99, v99                         // 000000007220: D0480046 0002C763
	v_add3_u32 v64, v99, v67, 1                                // 000000007228: D1FF0040 02068763
	v_cndmask_b32_e64 v41, v64, v66, s[70:71]                  // 000000007230: D1000029 011A8540
	v_perm_b32 v91, v41, v40, s49                              // 000000007238: D1ED005B 00C65129
	s_waitcnt lgkmcnt(0)                                       // 000000007240: BF8CC07F
	s_nop 0                                                    // 000000007244: BF800000
	v_mfma_f32_32x32x8_bf16 v[100:115], a[176:177], v[84:85], v[100:115]// 000000007248: D3E00064 0D92A9B0
	v_mfma_f32_32x32x8_bf16 v[100:115], a[178:179], v[86:87], v[100:115]// 000000007250: D3E00064 0D92ADB2
	v_mfma_f32_32x32x8_bf16 v[100:115], a[180:181], v[88:89], v[100:115]// 000000007258: D3E00064 0D92B1B4
	v_mfma_f32_32x32x8_bf16 v[100:115], a[182:183], v[90:91], v[100:115]// 000000007260: D3E00064 0D92B5B6
	v_mfma_f32_32x32x8_bf16 v[116:131], a[184:185], v[84:85], v[116:131]// 000000007268: D3E00074 0DD2A9B8
	v_mfma_f32_32x32x8_bf16 v[116:131], a[186:187], v[86:87], v[116:131]// 000000007270: D3E00074 0DD2ADBA
	v_mfma_f32_32x32x8_bf16 v[116:131], a[188:189], v[88:89], v[116:131]// 000000007278: D3E00074 0DD2B1BC
	v_mfma_f32_32x32x8_bf16 v[116:131], a[190:191], v[90:91], v[116:131]// 000000007280: D3E00074 0DD2B5BE
	v_mfma_f32_32x32x8_bf16 v[132:147], a[192:193], v[84:85], v[132:147]// 000000007288: D3E00084 0E12A9C0
	v_mfma_f32_32x32x8_bf16 v[132:147], a[194:195], v[86:87], v[132:147]// 000000007290: D3E00084 0E12ADC2
	v_mfma_f32_32x32x8_bf16 v[132:147], a[196:197], v[88:89], v[132:147]// 000000007298: D3E00084 0E12B1C4
	v_mfma_f32_32x32x8_bf16 v[132:147], a[198:199], v[90:91], v[132:147]// 0000000072A0: D3E00084 0E12B5C6
	v_mfma_f32_32x32x8_bf16 v[148:163], a[200:201], v[84:85], v[148:163]// 0000000072A8: D3E00094 0E52A9C8
	v_mfma_f32_32x32x8_bf16 v[148:163], a[202:203], v[86:87], v[148:163]// 0000000072B0: D3E00094 0E52ADCA
	v_mfma_f32_32x32x8_bf16 v[148:163], a[204:205], v[88:89], v[148:163]// 0000000072B8: D3E00094 0E52B1CC
	v_mfma_f32_32x32x8_bf16 v[148:163], a[206:207], v[90:91], v[148:163]// 0000000072C0: D3E00094 0E52B5CE
	s_branch label_10B8                                        // 0000000072C8: BF8200C5

00000000000072cc <label_0FF3>:
	s_nop 0                                                    // 0000000072CC: BF800000
	v_exp_f32_e32 v79, v79                                     // 0000000072D0: 7E9E414F
	v_exp_f32_e32 v80, v80                                     // 0000000072D4: 7EA04150
	v_exp_f32_e32 v81, v81                                     // 0000000072D8: 7EA24151
	v_exp_f32_e32 v82, v82                                     // 0000000072DC: 7EA44152
	v_exp_f32_e32 v83, v83                                     // 0000000072E0: 7EA64153
	v_mul_f32_e32 v46, v44, v46                                // 0000000072E4: 0A5C5D2C
	v_add_f32_e32 v62, v69, v68                                // 0000000072E8: 027C8945
	v_add_f32_e32 v62, v70, v62                                // 0000000072EC: 027C7D46
	v_add_f32_e32 v62, v71, v62                                // 0000000072F0: 027C7D47
	v_add_f32_e32 v62, v72, v62                                // 0000000072F4: 027C7D48
	v_add_f32_e32 v62, v73, v62                                // 0000000072F8: 027C7D49
	v_add_f32_e32 v62, v74, v62                                // 0000000072FC: 027C7D4A
	v_add_f32_e32 v62, v75, v62                                // 000000007300: 027C7D4B
	v_add_f32_e32 v62, v76, v62                                // 000000007304: 027C7D4C
	v_add_f32_e32 v62, v77, v62                                // 000000007308: 027C7D4D
	v_add_f32_e32 v62, v78, v62                                // 00000000730C: 027C7D4E
	v_add_f32_e32 v62, v79, v62                                // 000000007310: 027C7D4F
	v_add_f32_e32 v62, v80, v62                                // 000000007314: 027C7D50
	v_add_f32_e32 v62, v81, v62                                // 000000007318: 027C7D51
	v_add_f32_e32 v62, v82, v62                                // 00000000731C: 027C7D52
	v_add_f32_e32 v62, v83, v62                                // 000000007320: 027C7D53
	v_add_f32_e32 v46, v62, v46                                // 000000007324: 025C5D3E
	v_mul_f32_e32 v100, v44, v100                              // 000000007328: 0AC8C92C
	v_mul_f32_e32 v101, v44, v101                              // 00000000732C: 0ACACB2C
	v_mul_f32_e32 v102, v44, v102                              // 000000007330: 0ACCCD2C
	v_mul_f32_e32 v103, v44, v103                              // 000000007334: 0ACECF2C
	v_mul_f32_e32 v104, v44, v104                              // 000000007338: 0AD0D12C
	v_mul_f32_e32 v105, v44, v105                              // 00000000733C: 0AD2D32C
	v_mul_f32_e32 v106, v44, v106                              // 000000007340: 0AD4D52C
	v_mul_f32_e32 v107, v44, v107                              // 000000007344: 0AD6D72C
	v_mul_f32_e32 v108, v44, v108                              // 000000007348: 0AD8D92C
	v_mul_f32_e32 v109, v44, v109                              // 00000000734C: 0ADADB2C
	v_mul_f32_e32 v110, v44, v110                              // 000000007350: 0ADCDD2C
	v_mul_f32_e32 v111, v44, v111                              // 000000007354: 0ADEDF2C
	v_mul_f32_e32 v112, v44, v112                              // 000000007358: 0AE0E12C
	v_mul_f32_e32 v113, v44, v113                              // 00000000735C: 0AE2E32C
	v_mul_f32_e32 v114, v44, v114                              // 000000007360: 0AE4E52C
	v_mul_f32_e32 v115, v44, v115                              // 000000007364: 0AE6E72C
	v_mul_f32_e32 v116, v44, v116                              // 000000007368: 0AE8E92C
	v_mul_f32_e32 v117, v44, v117                              // 00000000736C: 0AEAEB2C
	v_mul_f32_e32 v118, v44, v118                              // 000000007370: 0AECED2C
	v_mul_f32_e32 v119, v44, v119                              // 000000007374: 0AEEEF2C
	v_mul_f32_e32 v120, v44, v120                              // 000000007378: 0AF0F12C
	v_mul_f32_e32 v121, v44, v121                              // 00000000737C: 0AF2F32C
	v_mul_f32_e32 v122, v44, v122                              // 000000007380: 0AF4F52C
	v_mul_f32_e32 v123, v44, v123                              // 000000007384: 0AF6F72C
	v_mul_f32_e32 v124, v44, v124                              // 000000007388: 0AF8F92C
	v_mul_f32_e32 v125, v44, v125                              // 00000000738C: 0AFAFB2C
	v_mul_f32_e32 v126, v44, v126                              // 000000007390: 0AFCFD2C
	v_mul_f32_e32 v127, v44, v127                              // 000000007394: 0AFEFF2C
	v_cmp_u_f32_e64 s[70:71], v68, v68                         // 000000007398: D0480046 00028944
	v_add3_u32 v64, v68, v67, 1                                // 0000000073A0: D1FF0040 02068744
	v_cndmask_b32_e64 v40, v64, v66, s[70:71]                  // 0000000073A8: D1000028 011A8540
	v_cmp_u_f32_e64 s[70:71], v69, v69                         // 0000000073B0: D0480046 00028B45
	v_add3_u32 v64, v69, v67, 1                                // 0000000073B8: D1FF0040 02068745
	v_cndmask_b32_e64 v41, v64, v66, s[70:71]                  // 0000000073C0: D1000029 011A8540
	v_perm_b32 v68, v41, v40, s49                              // 0000000073C8: D1ED0044 00C65129
	v_cmp_u_f32_e64 s[70:71], v70, v70                         // 0000000073D0: D0480046 00028D46
	v_add3_u32 v64, v70, v67, 1                                // 0000000073D8: D1FF0040 02068746
	v_cndmask_b32_e64 v40, v64, v66, s[70:71]                  // 0000000073E0: D1000028 011A8540
	v_cmp_u_f32_e64 s[70:71], v71, v71                         // 0000000073E8: D0480046 00028F47
	v_add3_u32 v64, v71, v67, 1                                // 0000000073F0: D1FF0040 02068747
	v_cndmask_b32_e64 v41, v64, v66, s[70:71]                  // 0000000073F8: D1000029 011A8540
	v_perm_b32 v69, v41, v40, s49                              // 000000007400: D1ED0045 00C65129
	v_cmp_u_f32_e64 s[70:71], v72, v72                         // 000000007408: D0480046 00029148
	v_add3_u32 v64, v72, v67, 1                                // 000000007410: D1FF0040 02068748
	v_cndmask_b32_e64 v40, v64, v66, s[70:71]                  // 000000007418: D1000028 011A8540
	v_cmp_u_f32_e64 s[70:71], v73, v73                         // 000000007420: D0480046 00029349
	v_add3_u32 v64, v73, v67, 1                                // 000000007428: D1FF0040 02068749
	v_cndmask_b32_e64 v41, v64, v66, s[70:71]                  // 000000007430: D1000029 011A8540
	v_perm_b32 v70, v41, v40, s49                              // 000000007438: D1ED0046 00C65129
	v_cmp_u_f32_e64 s[70:71], v74, v74                         // 000000007440: D0480046 0002954A
	v_add3_u32 v64, v74, v67, 1                                // 000000007448: D1FF0040 0206874A
	v_cndmask_b32_e64 v40, v64, v66, s[70:71]                  // 000000007450: D1000028 011A8540
	v_cmp_u_f32_e64 s[70:71], v75, v75                         // 000000007458: D0480046 0002974B
	v_add3_u32 v64, v75, v67, 1                                // 000000007460: D1FF0040 0206874B
	v_cndmask_b32_e64 v41, v64, v66, s[70:71]                  // 000000007468: D1000029 011A8540
	v_perm_b32 v71, v41, v40, s49                              // 000000007470: D1ED0047 00C65129
	v_cmp_u_f32_e64 s[70:71], v76, v76                         // 000000007478: D0480046 0002994C
	v_add3_u32 v64, v76, v67, 1                                // 000000007480: D1FF0040 0206874C
	v_cndmask_b32_e64 v40, v64, v66, s[70:71]                  // 000000007488: D1000028 011A8540
	v_cmp_u_f32_e64 s[70:71], v77, v77                         // 000000007490: D0480046 00029B4D
	v_add3_u32 v64, v77, v67, 1                                // 000000007498: D1FF0040 0206874D
	v_cndmask_b32_e64 v41, v64, v66, s[70:71]                  // 0000000074A0: D1000029 011A8540
	v_perm_b32 v72, v41, v40, s49                              // 0000000074A8: D1ED0048 00C65129
	v_cmp_u_f32_e64 s[70:71], v78, v78                         // 0000000074B0: D0480046 00029D4E
	v_add3_u32 v64, v78, v67, 1                                // 0000000074B8: D1FF0040 0206874E
	v_cndmask_b32_e64 v40, v64, v66, s[70:71]                  // 0000000074C0: D1000028 011A8540
	v_cmp_u_f32_e64 s[70:71], v79, v79                         // 0000000074C8: D0480046 00029F4F
	v_add3_u32 v64, v79, v67, 1                                // 0000000074D0: D1FF0040 0206874F
	v_cndmask_b32_e64 v41, v64, v66, s[70:71]                  // 0000000074D8: D1000029 011A8540
	v_perm_b32 v73, v41, v40, s49                              // 0000000074E0: D1ED0049 00C65129
	v_cmp_u_f32_e64 s[70:71], v80, v80                         // 0000000074E8: D0480046 0002A150
	v_add3_u32 v64, v80, v67, 1                                // 0000000074F0: D1FF0040 02068750
	v_cndmask_b32_e64 v40, v64, v66, s[70:71]                  // 0000000074F8: D1000028 011A8540
	v_cmp_u_f32_e64 s[70:71], v81, v81                         // 000000007500: D0480046 0002A351
	v_add3_u32 v64, v81, v67, 1                                // 000000007508: D1FF0040 02068751
	v_cndmask_b32_e64 v41, v64, v66, s[70:71]                  // 000000007510: D1000029 011A8540
	v_perm_b32 v74, v41, v40, s49                              // 000000007518: D1ED004A 00C65129
	v_cmp_u_f32_e64 s[70:71], v82, v82                         // 000000007520: D0480046 0002A552
	v_add3_u32 v64, v82, v67, 1                                // 000000007528: D1FF0040 02068752
	v_cndmask_b32_e64 v40, v64, v66, s[70:71]                  // 000000007530: D1000028 011A8540
	v_cmp_u_f32_e64 s[70:71], v83, v83                         // 000000007538: D0480046 0002A753
	v_add3_u32 v64, v83, v67, 1                                // 000000007540: D1FF0040 02068753
	v_cndmask_b32_e64 v41, v64, v66, s[70:71]                  // 000000007548: D1000029 011A8540
	v_perm_b32 v75, v41, v40, s49                              // 000000007550: D1ED004B 00C65129
	s_waitcnt lgkmcnt(0)                                       // 000000007558: BF8CC07F
	s_nop 0                                                    // 00000000755C: BF800000
	v_mfma_f32_32x32x8_bf16 v[100:115], a[144:145], v[68:69], v[100:115]// 000000007560: D3E00064 0D928990
	v_mfma_f32_32x32x8_bf16 v[100:115], a[146:147], v[70:71], v[100:115]// 000000007568: D3E00064 0D928D92
	v_mfma_f32_32x32x8_bf16 v[100:115], a[148:149], v[72:73], v[100:115]// 000000007570: D3E00064 0D929194
	v_mfma_f32_32x32x8_bf16 v[100:115], a[150:151], v[74:75], v[100:115]// 000000007578: D3E00064 0D929596
	v_mfma_f32_32x32x8_bf16 v[116:131], a[152:153], v[68:69], v[116:131]// 000000007580: D3E00074 0DD28998
	v_mfma_f32_32x32x8_bf16 v[116:131], a[154:155], v[70:71], v[116:131]// 000000007588: D3E00074 0DD28D9A
	v_mfma_f32_32x32x8_bf16 v[116:131], a[156:157], v[72:73], v[116:131]// 000000007590: D3E00074 0DD2919C
	v_mfma_f32_32x32x8_bf16 v[116:131], a[158:159], v[74:75], v[116:131]// 000000007598: D3E00074 0DD2959E
	v_mfma_f32_32x32x8_bf16 v[132:147], a[160:161], v[68:69], v[132:147]// 0000000075A0: D3E00084 0E1289A0
	v_mfma_f32_32x32x8_bf16 v[132:147], a[162:163], v[70:71], v[132:147]// 0000000075A8: D3E00084 0E128DA2
	v_mfma_f32_32x32x8_bf16 v[132:147], a[164:165], v[72:73], v[132:147]// 0000000075B0: D3E00084 0E1291A4
	v_mfma_f32_32x32x8_bf16 v[132:147], a[166:167], v[74:75], v[132:147]// 0000000075B8: D3E00084 0E1295A6
	v_mfma_f32_32x32x8_bf16 v[148:163], a[168:169], v[68:69], v[148:163]// 0000000075C0: D3E00094 0E5289A8
	v_mfma_f32_32x32x8_bf16 v[148:163], a[170:171], v[70:71], v[148:163]// 0000000075C8: D3E00094 0E528DAA
	v_mfma_f32_32x32x8_bf16 v[148:163], a[172:173], v[72:73], v[148:163]// 0000000075D0: D3E00094 0E5291AC
	v_mfma_f32_32x32x8_bf16 v[148:163], a[174:175], v[74:75], v[148:163]// 0000000075D8: D3E00094 0E5295AE

00000000000075e0 <label_10B8>:
	v_cvt_f32_u32_e32 v40, s62                                 // 0000000075E0: 7E500C3E
	s_sub_i32 s40, 0, s62                                      // 0000000075E4: 81A83E80
	v_rcp_iflag_f32_e32 v40, v40                               // 0000000075E8: 7E504728
	s_nop 0                                                    // 0000000075EC: BF800000
	v_mul_f32_e32 v40, 0x4f7ffffe, v40                         // 0000000075F0: 0A5050FF 4F7FFFFE
	v_cvt_u32_f32_e32 v40, v40                                 // 0000000075F8: 7E500F28
	v_mul_lo_u32 v41, s40, v40                                 // 0000000075FC: D2850029 00025028
	v_mul_hi_u32 v41, v40, v41                                 // 000000007604: D2860029 00025328
	v_add_u32_e32 v40, v40, v41                                // 00000000760C: 68505328
	v_mul_hi_u32 v40, s63, v40                                 // 000000007610: D2860028 0002503F
	v_mul_lo_u32 v41, v40, s62                                 // 000000007618: D2850029 00007D28
	v_sub_u32_e32 v43, s63, v41                                // 000000007620: 6A56523F
	v_add_u32_e32 v42, 1, v40                                  // 000000007624: 68545081
	v_cmp_le_u32_e32 vcc, s62, v43                             // 000000007628: 7D96563E
	v_subrev_u32_e32 v41, s62, v43                             // 00000000762C: 6C52563E
	s_nop 0                                                    // 000000007630: BF800000
	v_cndmask_b32_e32 v40, v40, v42, vcc                       // 000000007634: 00505528
	v_cndmask_b32_e32 v43, v43, v41, vcc                       // 000000007638: 0056532B
	v_add_u32_e32 v41, 1, v40                                  // 00000000763C: 68525081
	v_cmp_le_u32_e32 vcc, s62, v43                             // 000000007640: 7D96563E
	s_nop 1                                                    // 000000007644: BF800001
	v_cndmask_b32_e32 v43, v40, v41, vcc                       // 000000007648: 00565328
	s_nop 3                                                    // 00000000764C: BF800003
	v_readfirstlane_b32 s63, v43                               // 000000007650: 7E7E052B
	s_nop 3                                                    // 000000007654: BF800003
	s_mul_i32 s63, s63, s83                                    // 000000007658: 923F533F
	v_lshrrev_b32_e32 v40, 3, v0                               // 00000000765C: 20500083
	v_mul_i32_i24_e32 v28, s83, v40                            // 000000007660: 0C385053
	v_and_b32_e32 v40, 7, v0                                   // 000000007664: 26500087
	v_mul_i32_i24_e32 v40, 16, v40                             // 000000007668: 0C505090
	v_add_u32_e32 v28, v40, v28                                // 00000000766C: 68383928
	s_mul_i32 s40, s5, s83                                     // 000000007670: 92285305
	s_mul_i32 s40, s40, 32                                     // 000000007674: 9228A028
	s_add_u32 s40, s63, s40                                    // 000000007678: 8028283F
	v_add_u32_e32 v28, s40, v28                                // 00000000767C: 68383828
	s_mul_i32 s40, s83, 8                                      // 000000007680: 92288853
	v_add_u32_e32 v29, s40, v28                                // 000000007684: 683A3828
	v_add_u32_e32 v30, s40, v29                                // 000000007688: 683C3A28
	v_add_u32_e32 v31, s40, v30                                // 00000000768C: 683E3C28
	s_mul_i32 s40, s3, 0x80                                    // 000000007690: 9228FF03 00000080
	v_and_b32_e32 v3, 31, v0                                   // 000000007698: 2606009F
	v_add_u32_e32 v3, s40, v3                                  // 00000000769C: 68060628
	s_mul_i32 s40, s5, 32                                      // 0000000076A0: 9228A005
	v_add_u32_e32 v3, s40, v3                                  // 0000000076A4: 68060628
	v_lshlrev_b32_e32 v3, 2, v3                                // 0000000076A8: 24060682
	ds_permute_b32 v40, v56, v46                               // 0000000076AC: D87C0000 28002E38
	s_waitcnt lgkmcnt(0)                                       // 0000000076B4: BF8CC07F
	v_add_f32_e32 v46, v40, v46                                // 0000000076B8: 025C5D28
	v_mul_f32_e64 v40, v52, s28                                // 0000000076BC: D1050028 00003934
	v_log_f32_e32 v41, v46                                     // 0000000076C4: 7E52432E
	v_cmp_eq_f32_e64 s[40:41], v46, 0                          // 0000000076C8: D0420028 0001012E
	s_nop 1                                                    // 0000000076D0: BF800001
	v_rcp_f32_e32 v46, v46                                     // 0000000076D4: 7E5C452E
	s_nop 1                                                    // 0000000076D8: BF800001
	v_cndmask_b32_e64 v46, v46, 0, s[40:41]                    // 0000000076DC: D100002E 00A1012E
	v_fma_f32 v2, v41, s45, v40                                // 0000000076E4: D1CB0002 04A05B29
	v_mov_b32_e32 v47, v46                                     // 0000000076EC: 7E5E032E
	v_lshrrev_b32_e32 v40, 5, v0                               // 0000000076F0: 20500085
	v_mul_i32_i24_e32 v59, 0x42, v40                           // 0000000076F4: 0C7650FF 00000042
	v_and_b32_e32 v40, 31, v0                                  // 0000000076FC: 2650009F
	v_mul_i32_i24_e32 v40, 2, v40                              // 000000007700: 0C505082
	v_add_u32_e32 v59, v40, v59                                // 000000007704: 68767728
	s_mul_i32 s40, s5, 0x420                                   // 000000007708: 9228FF05 00000420
	v_add_u32_e32 v59, s40, v59                                // 000000007710: 68767628
	v_lshlrev_b32_e32 v59, 2, v59                              // 000000007714: 24767682
	v_lshrrev_b32_e32 v40, 3, v0                               // 000000007718: 20500083
	v_mul_i32_i24_e32 v58, 2, v40                              // 00000000771C: 0C745082
	v_and_b32_e32 v40, 7, v0                                   // 000000007720: 26500087
	v_mul_i32_i24_e32 v40, 0x84, v40                           // 000000007724: 0C5050FF 00000084
	v_add_u32_e32 v58, v40, v58                                // 00000000772C: 68747528
	s_mul_i32 s40, s5, 0x420                                   // 000000007730: 9228FF05 00000420
	v_add_u32_e32 v58, s40, v58                                // 000000007738: 68747428
	v_lshlrev_b32_e32 v58, 2, v58                              // 00000000773C: 24747482
	s_waitcnt vmcnt(0) expcnt(0) lgkmcnt(0)                    // 000000007740: BF8C0000
	s_barrier                                                  // 000000007744: BF8A0000
	v_pk_mul_f32 v[100:101], v[46:47], v[100:101]              // 000000007748: D3B14064 1802C92E
	v_pk_mul_f32 v[102:103], v[46:47], v[102:103]              // 000000007750: D3B14066 1802CD2E
	v_pk_mul_f32 v[104:105], v[46:47], v[104:105]              // 000000007758: D3B14068 1802D12E
	v_pk_mul_f32 v[106:107], v[46:47], v[106:107]              // 000000007760: D3B1406A 1802D52E
	v_pk_mul_f32 v[108:109], v[46:47], v[108:109]              // 000000007768: D3B1406C 1802D92E
	v_pk_mul_f32 v[110:111], v[46:47], v[110:111]              // 000000007770: D3B1406E 1802DD2E
	v_pk_mul_f32 v[112:113], v[46:47], v[112:113]              // 000000007778: D3B14070 1802E12E
	v_pk_mul_f32 v[114:115], v[46:47], v[114:115]              // 000000007780: D3B14072 1802E52E
	v_pk_mul_f32 v[116:117], v[46:47], v[116:117]              // 000000007788: D3B14074 1802E92E
	v_pk_mul_f32 v[118:119], v[46:47], v[118:119]              // 000000007790: D3B14076 1802ED2E
	v_pk_mul_f32 v[120:121], v[46:47], v[120:121]              // 000000007798: D3B14078 1802F12E
	v_pk_mul_f32 v[122:123], v[46:47], v[122:123]              // 0000000077A0: D3B1407A 1802F52E
	v_pk_mul_f32 v[124:125], v[46:47], v[124:125]              // 0000000077A8: D3B1407C 1802F92E
	v_pk_mul_f32 v[126:127], v[46:47], v[126:127]              // 0000000077B0: D3B1407E 1802FD2E
	v_pk_mul_f32 v[128:129], v[46:47], v[128:129]              // 0000000077B8: D3B14080 1803012E
	v_pk_mul_f32 v[130:131], v[46:47], v[130:131]              // 0000000077C0: D3B14082 1803052E
	v_cmp_u_f32_e64 s[70:71], v100, v100                       // 0000000077C8: D0480046 0002C964
	v_add3_u32 v64, v100, v67, 1                               // 0000000077D0: D1FF0040 02068764
	v_cndmask_b32_e64 v40, v64, v66, s[70:71]                  // 0000000077D8: D1000028 011A8540
	v_cmp_u_f32_e64 s[70:71], v101, v101                       // 0000000077E0: D0480046 0002CB65
	v_add3_u32 v64, v101, v67, 1                               // 0000000077E8: D1FF0040 02068765
	v_cndmask_b32_e64 v41, v64, v66, s[70:71]                  // 0000000077F0: D1000029 011A8540
	v_perm_b32 v100, v41, v40, s49                             // 0000000077F8: D1ED0064 00C65129
	v_cmp_u_f32_e64 s[70:71], v102, v102                       // 000000007800: D0480046 0002CD66
	v_add3_u32 v64, v102, v67, 1                               // 000000007808: D1FF0040 02068766
	v_cndmask_b32_e64 v40, v64, v66, s[70:71]                  // 000000007810: D1000028 011A8540
	v_cmp_u_f32_e64 s[70:71], v103, v103                       // 000000007818: D0480046 0002CF67
	v_add3_u32 v64, v103, v67, 1                               // 000000007820: D1FF0040 02068767
	v_cndmask_b32_e64 v41, v64, v66, s[70:71]                  // 000000007828: D1000029 011A8540
	v_perm_b32 v101, v41, v40, s49                             // 000000007830: D1ED0065 00C65129
	v_cmp_u_f32_e64 s[70:71], v104, v104                       // 000000007838: D0480046 0002D168
	v_add3_u32 v64, v104, v67, 1                               // 000000007840: D1FF0040 02068768
	v_cndmask_b32_e64 v40, v64, v66, s[70:71]                  // 000000007848: D1000028 011A8540
	v_cmp_u_f32_e64 s[70:71], v105, v105                       // 000000007850: D0480046 0002D369
	v_add3_u32 v64, v105, v67, 1                               // 000000007858: D1FF0040 02068769
	v_cndmask_b32_e64 v41, v64, v66, s[70:71]                  // 000000007860: D1000029 011A8540
	v_perm_b32 v102, v41, v40, s49                             // 000000007868: D1ED0066 00C65129
	v_cmp_u_f32_e64 s[70:71], v106, v106                       // 000000007870: D0480046 0002D56A
	v_add3_u32 v64, v106, v67, 1                               // 000000007878: D1FF0040 0206876A
	v_cndmask_b32_e64 v40, v64, v66, s[70:71]                  // 000000007880: D1000028 011A8540
	v_cmp_u_f32_e64 s[70:71], v107, v107                       // 000000007888: D0480046 0002D76B
	v_add3_u32 v64, v107, v67, 1                               // 000000007890: D1FF0040 0206876B
	v_cndmask_b32_e64 v41, v64, v66, s[70:71]                  // 000000007898: D1000029 011A8540
	v_perm_b32 v103, v41, v40, s49                             // 0000000078A0: D1ED0067 00C65129
	v_cmp_u_f32_e64 s[70:71], v108, v108                       // 0000000078A8: D0480046 0002D96C
	v_add3_u32 v64, v108, v67, 1                               // 0000000078B0: D1FF0040 0206876C
	v_cndmask_b32_e64 v40, v64, v66, s[70:71]                  // 0000000078B8: D1000028 011A8540
	v_cmp_u_f32_e64 s[70:71], v109, v109                       // 0000000078C0: D0480046 0002DB6D
	v_add3_u32 v64, v109, v67, 1                               // 0000000078C8: D1FF0040 0206876D
	v_cndmask_b32_e64 v41, v64, v66, s[70:71]                  // 0000000078D0: D1000029 011A8540
	v_perm_b32 v104, v41, v40, s49                             // 0000000078D8: D1ED0068 00C65129
	v_cmp_u_f32_e64 s[70:71], v110, v110                       // 0000000078E0: D0480046 0002DD6E
	v_add3_u32 v64, v110, v67, 1                               // 0000000078E8: D1FF0040 0206876E
	v_cndmask_b32_e64 v40, v64, v66, s[70:71]                  // 0000000078F0: D1000028 011A8540
	v_cmp_u_f32_e64 s[70:71], v111, v111                       // 0000000078F8: D0480046 0002DF6F
	v_add3_u32 v64, v111, v67, 1                               // 000000007900: D1FF0040 0206876F
	v_cndmask_b32_e64 v41, v64, v66, s[70:71]                  // 000000007908: D1000029 011A8540
	v_perm_b32 v105, v41, v40, s49                             // 000000007910: D1ED0069 00C65129
	v_cmp_u_f32_e64 s[70:71], v112, v112                       // 000000007918: D0480046 0002E170
	v_add3_u32 v64, v112, v67, 1                               // 000000007920: D1FF0040 02068770
	v_cndmask_b32_e64 v40, v64, v66, s[70:71]                  // 000000007928: D1000028 011A8540
	v_cmp_u_f32_e64 s[70:71], v113, v113                       // 000000007930: D0480046 0002E371
	v_add3_u32 v64, v113, v67, 1                               // 000000007938: D1FF0040 02068771
	v_cndmask_b32_e64 v41, v64, v66, s[70:71]                  // 000000007940: D1000029 011A8540
	v_perm_b32 v106, v41, v40, s49                             // 000000007948: D1ED006A 00C65129
	v_cmp_u_f32_e64 s[70:71], v114, v114                       // 000000007950: D0480046 0002E572
	v_add3_u32 v64, v114, v67, 1                               // 000000007958: D1FF0040 02068772
	v_cndmask_b32_e64 v40, v64, v66, s[70:71]                  // 000000007960: D1000028 011A8540
	v_cmp_u_f32_e64 s[70:71], v115, v115                       // 000000007968: D0480046 0002E773
	v_add3_u32 v64, v115, v67, 1                               // 000000007970: D1FF0040 02068773
	v_cndmask_b32_e64 v41, v64, v66, s[70:71]                  // 000000007978: D1000029 011A8540
	v_perm_b32 v107, v41, v40, s49                             // 000000007980: D1ED006B 00C65129
	v_cmp_u_f32_e64 s[70:71], v116, v116                       // 000000007988: D0480046 0002E974
	v_add3_u32 v64, v116, v67, 1                               // 000000007990: D1FF0040 02068774
	v_cndmask_b32_e64 v40, v64, v66, s[70:71]                  // 000000007998: D1000028 011A8540
	v_cmp_u_f32_e64 s[70:71], v117, v117                       // 0000000079A0: D0480046 0002EB75
	v_add3_u32 v64, v117, v67, 1                               // 0000000079A8: D1FF0040 02068775
	v_cndmask_b32_e64 v41, v64, v66, s[70:71]                  // 0000000079B0: D1000029 011A8540
	v_perm_b32 v108, v41, v40, s49                             // 0000000079B8: D1ED006C 00C65129
	v_cmp_u_f32_e64 s[70:71], v118, v118                       // 0000000079C0: D0480046 0002ED76
	v_add3_u32 v64, v118, v67, 1                               // 0000000079C8: D1FF0040 02068776
	v_cndmask_b32_e64 v40, v64, v66, s[70:71]                  // 0000000079D0: D1000028 011A8540
	v_cmp_u_f32_e64 s[70:71], v119, v119                       // 0000000079D8: D0480046 0002EF77
	v_add3_u32 v64, v119, v67, 1                               // 0000000079E0: D1FF0040 02068777
	v_cndmask_b32_e64 v41, v64, v66, s[70:71]                  // 0000000079E8: D1000029 011A8540
	v_perm_b32 v109, v41, v40, s49                             // 0000000079F0: D1ED006D 00C65129
	v_cmp_u_f32_e64 s[70:71], v120, v120                       // 0000000079F8: D0480046 0002F178
	v_add3_u32 v64, v120, v67, 1                               // 000000007A00: D1FF0040 02068778
	v_cndmask_b32_e64 v40, v64, v66, s[70:71]                  // 000000007A08: D1000028 011A8540
	v_cmp_u_f32_e64 s[70:71], v121, v121                       // 000000007A10: D0480046 0002F379
	v_add3_u32 v64, v121, v67, 1                               // 000000007A18: D1FF0040 02068779
	v_cndmask_b32_e64 v41, v64, v66, s[70:71]                  // 000000007A20: D1000029 011A8540
	v_perm_b32 v110, v41, v40, s49                             // 000000007A28: D1ED006E 00C65129
	v_cmp_u_f32_e64 s[70:71], v122, v122                       // 000000007A30: D0480046 0002F57A
	v_add3_u32 v64, v122, v67, 1                               // 000000007A38: D1FF0040 0206877A
	v_cndmask_b32_e64 v40, v64, v66, s[70:71]                  // 000000007A40: D1000028 011A8540
	v_cmp_u_f32_e64 s[70:71], v123, v123                       // 000000007A48: D0480046 0002F77B
	v_add3_u32 v64, v123, v67, 1                               // 000000007A50: D1FF0040 0206877B
	v_cndmask_b32_e64 v41, v64, v66, s[70:71]                  // 000000007A58: D1000029 011A8540
	v_perm_b32 v111, v41, v40, s49                             // 000000007A60: D1ED006F 00C65129
	v_cmp_u_f32_e64 s[70:71], v124, v124                       // 000000007A68: D0480046 0002F97C
	v_add3_u32 v64, v124, v67, 1                               // 000000007A70: D1FF0040 0206877C
	v_cndmask_b32_e64 v40, v64, v66, s[70:71]                  // 000000007A78: D1000028 011A8540
	v_cmp_u_f32_e64 s[70:71], v125, v125                       // 000000007A80: D0480046 0002FB7D
	v_add3_u32 v64, v125, v67, 1                               // 000000007A88: D1FF0040 0206877D
	v_cndmask_b32_e64 v41, v64, v66, s[70:71]                  // 000000007A90: D1000029 011A8540
	v_perm_b32 v112, v41, v40, s49                             // 000000007A98: D1ED0070 00C65129
	v_cmp_u_f32_e64 s[70:71], v126, v126                       // 000000007AA0: D0480046 0002FD7E
	v_add3_u32 v64, v126, v67, 1                               // 000000007AA8: D1FF0040 0206877E
	v_cndmask_b32_e64 v40, v64, v66, s[70:71]                  // 000000007AB0: D1000028 011A8540
	v_cmp_u_f32_e64 s[70:71], v127, v127                       // 000000007AB8: D0480046 0002FF7F
	v_add3_u32 v64, v127, v67, 1                               // 000000007AC0: D1FF0040 0206877F
	v_cndmask_b32_e64 v41, v64, v66, s[70:71]                  // 000000007AC8: D1000029 011A8540
	v_perm_b32 v113, v41, v40, s49                             // 000000007AD0: D1ED0071 00C65129
	v_cmp_u_f32_e64 s[70:71], v128, v128                       // 000000007AD8: D0480046 00030180
	v_add3_u32 v64, v128, v67, 1                               // 000000007AE0: D1FF0040 02068780
	v_cndmask_b32_e64 v40, v64, v66, s[70:71]                  // 000000007AE8: D1000028 011A8540
	v_cmp_u_f32_e64 s[70:71], v129, v129                       // 000000007AF0: D0480046 00030381
	v_add3_u32 v64, v129, v67, 1                               // 000000007AF8: D1FF0040 02068781
	v_cndmask_b32_e64 v41, v64, v66, s[70:71]                  // 000000007B00: D1000029 011A8540
	v_perm_b32 v114, v41, v40, s49                             // 000000007B08: D1ED0072 00C65129
	v_cmp_u_f32_e64 s[70:71], v130, v130                       // 000000007B10: D0480046 00030582
	v_add3_u32 v64, v130, v67, 1                               // 000000007B18: D1FF0040 02068782
	v_cndmask_b32_e64 v40, v64, v66, s[70:71]                  // 000000007B20: D1000028 011A8540
	v_cmp_u_f32_e64 s[70:71], v131, v131                       // 000000007B28: D0480046 00030783
	v_add3_u32 v64, v131, v67, 1                               // 000000007B30: D1FF0040 02068783
	v_cndmask_b32_e64 v41, v64, v66, s[70:71]                  // 000000007B38: D1000029 011A8540
	v_perm_b32 v115, v41, v40, s49                             // 000000007B40: D1ED0073 00C65129
	ds_write_b64 v59, v[100:101]                               // 000000007B48: D89A0000 0000643B
	ds_write_b64 v59, v[102:103] offset:528                    // 000000007B50: D89A0210 0000663B
	ds_write_b64 v59, v[104:105] offset:1056                   // 000000007B58: D89A0420 0000683B
	ds_write_b64 v59, v[106:107] offset:1584                   // 000000007B60: D89A0630 00006A3B
	ds_write_b64 v59, v[108:109] offset:2112                   // 000000007B68: D89A0840 00006C3B
	ds_write_b64 v59, v[110:111] offset:2640                   // 000000007B70: D89A0A50 00006E3B
	ds_write_b64 v59, v[112:113] offset:3168                   // 000000007B78: D89A0C60 0000703B
	ds_write_b64 v59, v[114:115] offset:3696                   // 000000007B80: D89A0E70 0000723B
	s_waitcnt vmcnt(0) expcnt(0) lgkmcnt(0)                    // 000000007B88: BF8C0000
	ds_read_b64 v[100:101], v58                                // 000000007B8C: D8EC0000 6400003A
	ds_read_b64 v[102:103], v58 offset:264                     // 000000007B94: D8EC0108 6600003A
	ds_read_b64 v[104:105], v58 offset:64                      // 000000007B9C: D8EC0040 6800003A
	ds_read_b64 v[106:107], v58 offset:328                     // 000000007BA4: D8EC0148 6A00003A
	ds_read_b64 v[108:109], v58 offset:128                     // 000000007BAC: D8EC0080 6C00003A
	ds_read_b64 v[110:111], v58 offset:392                     // 000000007BB4: D8EC0188 6E00003A
	ds_read_b64 v[112:113], v58 offset:192                     // 000000007BBC: D8EC00C0 7000003A
	ds_read_b64 v[114:115], v58 offset:456                     // 000000007BC4: D8EC01C8 7200003A
	s_waitcnt vmcnt(0) expcnt(0) lgkmcnt(0)                    // 000000007BCC: BF8C0000
	buffer_store_dwordx4 v[100:103], v28, s[20:23], 0 offen    // 000000007BD0: E07C1000 8005641C
	buffer_store_dwordx4 v[104:107], v29, s[20:23], 0 offen    // 000000007BD8: E07C1000 8005681D
	buffer_store_dwordx4 v[108:111], v30, s[20:23], 0 offen    // 000000007BE0: E07C1000 80056C1E
	buffer_store_dwordx4 v[112:115], v31, s[20:23], 0 offen    // 000000007BE8: E07C1000 8005701F
	v_pk_mul_f32 v[132:133], v[46:47], v[132:133]              // 000000007BF0: D3B14084 1803092E
	v_pk_mul_f32 v[134:135], v[46:47], v[134:135]              // 000000007BF8: D3B14086 18030D2E
	v_pk_mul_f32 v[136:137], v[46:47], v[136:137]              // 000000007C00: D3B14088 1803112E
	v_pk_mul_f32 v[138:139], v[46:47], v[138:139]              // 000000007C08: D3B1408A 1803152E
	v_pk_mul_f32 v[140:141], v[46:47], v[140:141]              // 000000007C10: D3B1408C 1803192E
	v_pk_mul_f32 v[142:143], v[46:47], v[142:143]              // 000000007C18: D3B1408E 18031D2E
	v_pk_mul_f32 v[144:145], v[46:47], v[144:145]              // 000000007C20: D3B14090 1803212E
	v_pk_mul_f32 v[146:147], v[46:47], v[146:147]              // 000000007C28: D3B14092 1803252E
	v_pk_mul_f32 v[148:149], v[46:47], v[148:149]              // 000000007C30: D3B14094 1803292E
	v_pk_mul_f32 v[150:151], v[46:47], v[150:151]              // 000000007C38: D3B14096 18032D2E
	v_pk_mul_f32 v[152:153], v[46:47], v[152:153]              // 000000007C40: D3B14098 1803312E
	v_pk_mul_f32 v[154:155], v[46:47], v[154:155]              // 000000007C48: D3B1409A 1803352E
	v_pk_mul_f32 v[156:157], v[46:47], v[156:157]              // 000000007C50: D3B1409C 1803392E
	v_pk_mul_f32 v[158:159], v[46:47], v[158:159]              // 000000007C58: D3B1409E 18033D2E
	v_pk_mul_f32 v[160:161], v[46:47], v[160:161]              // 000000007C60: D3B140A0 1803412E
	v_pk_mul_f32 v[162:163], v[46:47], v[162:163]              // 000000007C68: D3B140A2 1803452E
	v_cmp_u_f32_e64 s[70:71], v132, v132                       // 000000007C70: D0480046 00030984
	v_add3_u32 v64, v132, v67, 1                               // 000000007C78: D1FF0040 02068784
	v_cndmask_b32_e64 v40, v64, v66, s[70:71]                  // 000000007C80: D1000028 011A8540
	v_cmp_u_f32_e64 s[70:71], v133, v133                       // 000000007C88: D0480046 00030B85
	v_add3_u32 v64, v133, v67, 1                               // 000000007C90: D1FF0040 02068785
	v_cndmask_b32_e64 v41, v64, v66, s[70:71]                  // 000000007C98: D1000029 011A8540
	v_perm_b32 v132, v41, v40, s49                             // 000000007CA0: D1ED0084 00C65129
	v_cmp_u_f32_e64 s[70:71], v134, v134                       // 000000007CA8: D0480046 00030D86
	v_add3_u32 v64, v134, v67, 1                               // 000000007CB0: D1FF0040 02068786
	v_cndmask_b32_e64 v40, v64, v66, s[70:71]                  // 000000007CB8: D1000028 011A8540
	v_cmp_u_f32_e64 s[70:71], v135, v135                       // 000000007CC0: D0480046 00030F87
	v_add3_u32 v64, v135, v67, 1                               // 000000007CC8: D1FF0040 02068787
	v_cndmask_b32_e64 v41, v64, v66, s[70:71]                  // 000000007CD0: D1000029 011A8540
	v_perm_b32 v133, v41, v40, s49                             // 000000007CD8: D1ED0085 00C65129
	v_cmp_u_f32_e64 s[70:71], v136, v136                       // 000000007CE0: D0480046 00031188
	v_add3_u32 v64, v136, v67, 1                               // 000000007CE8: D1FF0040 02068788
	v_cndmask_b32_e64 v40, v64, v66, s[70:71]                  // 000000007CF0: D1000028 011A8540
	v_cmp_u_f32_e64 s[70:71], v137, v137                       // 000000007CF8: D0480046 00031389
	v_add3_u32 v64, v137, v67, 1                               // 000000007D00: D1FF0040 02068789
	v_cndmask_b32_e64 v41, v64, v66, s[70:71]                  // 000000007D08: D1000029 011A8540
	v_perm_b32 v134, v41, v40, s49                             // 000000007D10: D1ED0086 00C65129
	v_cmp_u_f32_e64 s[70:71], v138, v138                       // 000000007D18: D0480046 0003158A
	v_add3_u32 v64, v138, v67, 1                               // 000000007D20: D1FF0040 0206878A
	v_cndmask_b32_e64 v40, v64, v66, s[70:71]                  // 000000007D28: D1000028 011A8540
	v_cmp_u_f32_e64 s[70:71], v139, v139                       // 000000007D30: D0480046 0003178B
	v_add3_u32 v64, v139, v67, 1                               // 000000007D38: D1FF0040 0206878B
	v_cndmask_b32_e64 v41, v64, v66, s[70:71]                  // 000000007D40: D1000029 011A8540
	v_perm_b32 v135, v41, v40, s49                             // 000000007D48: D1ED0087 00C65129
	v_cmp_u_f32_e64 s[70:71], v140, v140                       // 000000007D50: D0480046 0003198C
	v_add3_u32 v64, v140, v67, 1                               // 000000007D58: D1FF0040 0206878C
	v_cndmask_b32_e64 v40, v64, v66, s[70:71]                  // 000000007D60: D1000028 011A8540
	v_cmp_u_f32_e64 s[70:71], v141, v141                       // 000000007D68: D0480046 00031B8D
	v_add3_u32 v64, v141, v67, 1                               // 000000007D70: D1FF0040 0206878D
	v_cndmask_b32_e64 v41, v64, v66, s[70:71]                  // 000000007D78: D1000029 011A8540
	v_perm_b32 v136, v41, v40, s49                             // 000000007D80: D1ED0088 00C65129
	v_cmp_u_f32_e64 s[70:71], v142, v142                       // 000000007D88: D0480046 00031D8E
	v_add3_u32 v64, v142, v67, 1                               // 000000007D90: D1FF0040 0206878E
	v_cndmask_b32_e64 v40, v64, v66, s[70:71]                  // 000000007D98: D1000028 011A8540
	v_cmp_u_f32_e64 s[70:71], v143, v143                       // 000000007DA0: D0480046 00031F8F
	v_add3_u32 v64, v143, v67, 1                               // 000000007DA8: D1FF0040 0206878F
	v_cndmask_b32_e64 v41, v64, v66, s[70:71]                  // 000000007DB0: D1000029 011A8540
	v_perm_b32 v137, v41, v40, s49                             // 000000007DB8: D1ED0089 00C65129
	v_cmp_u_f32_e64 s[70:71], v144, v144                       // 000000007DC0: D0480046 00032190
	v_add3_u32 v64, v144, v67, 1                               // 000000007DC8: D1FF0040 02068790
	v_cndmask_b32_e64 v40, v64, v66, s[70:71]                  // 000000007DD0: D1000028 011A8540
	v_cmp_u_f32_e64 s[70:71], v145, v145                       // 000000007DD8: D0480046 00032391
	v_add3_u32 v64, v145, v67, 1                               // 000000007DE0: D1FF0040 02068791
	v_cndmask_b32_e64 v41, v64, v66, s[70:71]                  // 000000007DE8: D1000029 011A8540
	v_perm_b32 v138, v41, v40, s49                             // 000000007DF0: D1ED008A 00C65129
	v_cmp_u_f32_e64 s[70:71], v146, v146                       // 000000007DF8: D0480046 00032592
	v_add3_u32 v64, v146, v67, 1                               // 000000007E00: D1FF0040 02068792
	v_cndmask_b32_e64 v40, v64, v66, s[70:71]                  // 000000007E08: D1000028 011A8540
	v_cmp_u_f32_e64 s[70:71], v147, v147                       // 000000007E10: D0480046 00032793
	v_add3_u32 v64, v147, v67, 1                               // 000000007E18: D1FF0040 02068793
	v_cndmask_b32_e64 v41, v64, v66, s[70:71]                  // 000000007E20: D1000029 011A8540
	v_perm_b32 v139, v41, v40, s49                             // 000000007E28: D1ED008B 00C65129
	v_cmp_u_f32_e64 s[70:71], v148, v148                       // 000000007E30: D0480046 00032994
	v_add3_u32 v64, v148, v67, 1                               // 000000007E38: D1FF0040 02068794
	v_cndmask_b32_e64 v40, v64, v66, s[70:71]                  // 000000007E40: D1000028 011A8540
	v_cmp_u_f32_e64 s[70:71], v149, v149                       // 000000007E48: D0480046 00032B95
	v_add3_u32 v64, v149, v67, 1                               // 000000007E50: D1FF0040 02068795
	v_cndmask_b32_e64 v41, v64, v66, s[70:71]                  // 000000007E58: D1000029 011A8540
	v_perm_b32 v140, v41, v40, s49                             // 000000007E60: D1ED008C 00C65129
	v_cmp_u_f32_e64 s[70:71], v150, v150                       // 000000007E68: D0480046 00032D96
	v_add3_u32 v64, v150, v67, 1                               // 000000007E70: D1FF0040 02068796
	v_cndmask_b32_e64 v40, v64, v66, s[70:71]                  // 000000007E78: D1000028 011A8540
	v_cmp_u_f32_e64 s[70:71], v151, v151                       // 000000007E80: D0480046 00032F97
	v_add3_u32 v64, v151, v67, 1                               // 000000007E88: D1FF0040 02068797
	v_cndmask_b32_e64 v41, v64, v66, s[70:71]                  // 000000007E90: D1000029 011A8540
	v_perm_b32 v141, v41, v40, s49                             // 000000007E98: D1ED008D 00C65129
	v_cmp_u_f32_e64 s[70:71], v152, v152                       // 000000007EA0: D0480046 00033198
	v_add3_u32 v64, v152, v67, 1                               // 000000007EA8: D1FF0040 02068798
	v_cndmask_b32_e64 v40, v64, v66, s[70:71]                  // 000000007EB0: D1000028 011A8540
	v_cmp_u_f32_e64 s[70:71], v153, v153                       // 000000007EB8: D0480046 00033399
	v_add3_u32 v64, v153, v67, 1                               // 000000007EC0: D1FF0040 02068799
	v_cndmask_b32_e64 v41, v64, v66, s[70:71]                  // 000000007EC8: D1000029 011A8540
	v_perm_b32 v142, v41, v40, s49                             // 000000007ED0: D1ED008E 00C65129
	v_cmp_u_f32_e64 s[70:71], v154, v154                       // 000000007ED8: D0480046 0003359A
	v_add3_u32 v64, v154, v67, 1                               // 000000007EE0: D1FF0040 0206879A
	v_cndmask_b32_e64 v40, v64, v66, s[70:71]                  // 000000007EE8: D1000028 011A8540
	v_cmp_u_f32_e64 s[70:71], v155, v155                       // 000000007EF0: D0480046 0003379B
	v_add3_u32 v64, v155, v67, 1                               // 000000007EF8: D1FF0040 0206879B
	v_cndmask_b32_e64 v41, v64, v66, s[70:71]                  // 000000007F00: D1000029 011A8540
	v_perm_b32 v143, v41, v40, s49                             // 000000007F08: D1ED008F 00C65129
	v_cmp_u_f32_e64 s[70:71], v156, v156                       // 000000007F10: D0480046 0003399C
	v_add3_u32 v64, v156, v67, 1                               // 000000007F18: D1FF0040 0206879C
	v_cndmask_b32_e64 v40, v64, v66, s[70:71]                  // 000000007F20: D1000028 011A8540
	v_cmp_u_f32_e64 s[70:71], v157, v157                       // 000000007F28: D0480046 00033B9D
	v_add3_u32 v64, v157, v67, 1                               // 000000007F30: D1FF0040 0206879D
	v_cndmask_b32_e64 v41, v64, v66, s[70:71]                  // 000000007F38: D1000029 011A8540
	v_perm_b32 v144, v41, v40, s49                             // 000000007F40: D1ED0090 00C65129
	v_cmp_u_f32_e64 s[70:71], v158, v158                       // 000000007F48: D0480046 00033D9E
	v_add3_u32 v64, v158, v67, 1                               // 000000007F50: D1FF0040 0206879E
	v_cndmask_b32_e64 v40, v64, v66, s[70:71]                  // 000000007F58: D1000028 011A8540
	v_cmp_u_f32_e64 s[70:71], v159, v159                       // 000000007F60: D0480046 00033F9F
	v_add3_u32 v64, v159, v67, 1                               // 000000007F68: D1FF0040 0206879F
	v_cndmask_b32_e64 v41, v64, v66, s[70:71]                  // 000000007F70: D1000029 011A8540
	v_perm_b32 v145, v41, v40, s49                             // 000000007F78: D1ED0091 00C65129
	v_cmp_u_f32_e64 s[70:71], v160, v160                       // 000000007F80: D0480046 000341A0
	v_add3_u32 v64, v160, v67, 1                               // 000000007F88: D1FF0040 020687A0
	v_cndmask_b32_e64 v40, v64, v66, s[70:71]                  // 000000007F90: D1000028 011A8540
	v_cmp_u_f32_e64 s[70:71], v161, v161                       // 000000007F98: D0480046 000343A1
	v_add3_u32 v64, v161, v67, 1                               // 000000007FA0: D1FF0040 020687A1
	v_cndmask_b32_e64 v41, v64, v66, s[70:71]                  // 000000007FA8: D1000029 011A8540
	v_perm_b32 v146, v41, v40, s49                             // 000000007FB0: D1ED0092 00C65129
	v_cmp_u_f32_e64 s[70:71], v162, v162                       // 000000007FB8: D0480046 000345A2
	v_add3_u32 v64, v162, v67, 1                               // 000000007FC0: D1FF0040 020687A2
	v_cndmask_b32_e64 v40, v64, v66, s[70:71]                  // 000000007FC8: D1000028 011A8540
	v_cmp_u_f32_e64 s[70:71], v163, v163                       // 000000007FD0: D0480046 000347A3
	v_add3_u32 v64, v163, v67, 1                               // 000000007FD8: D1FF0040 020687A3
	v_cndmask_b32_e64 v41, v64, v66, s[70:71]                  // 000000007FE0: D1000029 011A8540
	v_perm_b32 v147, v41, v40, s49                             // 000000007FE8: D1ED0093 00C65129
	ds_write_b64 v59, v[132:133]                               // 000000007FF0: D89A0000 0000843B
	ds_write_b64 v59, v[134:135] offset:528                    // 000000007FF8: D89A0210 0000863B
	ds_write_b64 v59, v[136:137] offset:1056                   // 000000008000: D89A0420 0000883B
	ds_write_b64 v59, v[138:139] offset:1584                   // 000000008008: D89A0630 00008A3B
	ds_write_b64 v59, v[140:141] offset:2112                   // 000000008010: D89A0840 00008C3B
	ds_write_b64 v59, v[142:143] offset:2640                   // 000000008018: D89A0A50 00008E3B
	ds_write_b64 v59, v[144:145] offset:3168                   // 000000008020: D89A0C60 0000903B
	ds_write_b64 v59, v[146:147] offset:3696                   // 000000008028: D89A0E70 0000923B
	s_waitcnt vmcnt(0) expcnt(0) lgkmcnt(0)                    // 000000008030: BF8C0000
	ds_read_b64 v[132:133], v58                                // 000000008034: D8EC0000 8400003A
	ds_read_b64 v[134:135], v58 offset:264                     // 00000000803C: D8EC0108 8600003A
	ds_read_b64 v[136:137], v58 offset:64                      // 000000008044: D8EC0040 8800003A
	ds_read_b64 v[138:139], v58 offset:328                     // 00000000804C: D8EC0148 8A00003A
	ds_read_b64 v[140:141], v58 offset:128                     // 000000008054: D8EC0080 8C00003A
	ds_read_b64 v[142:143], v58 offset:392                     // 00000000805C: D8EC0188 8E00003A
	ds_read_b64 v[144:145], v58 offset:192                     // 000000008064: D8EC00C0 9000003A
	ds_read_b64 v[146:147], v58 offset:456                     // 00000000806C: D8EC01C8 9200003A
	s_waitcnt vmcnt(0) expcnt(0) lgkmcnt(0)                    // 000000008074: BF8C0000
	buffer_store_dwordx4 v[132:135], v28, s[20:23], 0 offen offset:128// 000000008078: E07C1080 8005841C
	buffer_store_dwordx4 v[136:139], v29, s[20:23], 0 offen offset:128// 000000008080: E07C1080 8005881D
	buffer_store_dwordx4 v[140:143], v30, s[20:23], 0 offen offset:128// 000000008088: E07C1080 80058C1E
	buffer_store_dwordx4 v[144:147], v31, s[20:23], 0 offen offset:128// 000000008090: E07C1080 8005901F
	s_cmp_eq_u32 s37, 0                                        // 000000008098: BF068025
	s_cbranch_scc1 label_136E                                  // 00000000809C: BF850006
	v_cmp_ge_f32_e64 s[40:41], v2, v55                         // 0000000080A0: D0460028 00026F02
	v_cndmask_b32_e64 v2, v55, v2, s[40:41]                    // 0000000080A8: D1000002 00A20537
	buffer_store_dword v2, v3, s[24:27], 0 offen               // 0000000080B0: E0701000 80060203

00000000000080b8 <label_136E>:
	s_waitcnt vmcnt(0) expcnt(0) lgkmcnt(0)                    // 0000000080B8: BF8C0000
	s_endpgm                                                   // 0000000080BC: BF810000
